;; amdgpu-corpus repo=ROCm/rocFFT kind=compiled arch=gfx1030 opt=O3
	.text
	.amdgcn_target "amdgcn-amd-amdhsa--gfx1030"
	.amdhsa_code_object_version 6
	.protected	bluestein_single_fwd_len1870_dim1_dp_op_CI_CI ; -- Begin function bluestein_single_fwd_len1870_dim1_dp_op_CI_CI
	.globl	bluestein_single_fwd_len1870_dim1_dp_op_CI_CI
	.p2align	8
	.type	bluestein_single_fwd_len1870_dim1_dp_op_CI_CI,@function
bluestein_single_fwd_len1870_dim1_dp_op_CI_CI: ; @bluestein_single_fwd_len1870_dim1_dp_op_CI_CI
; %bb.0:
	v_mul_u32_u24_e32 v1, 0x15f, v0
	s_mov_b64 s[62:63], s[2:3]
	s_mov_b64 s[60:61], s[0:1]
	s_load_dwordx4 s[0:3], s[4:5], 0x28
	s_add_u32 s60, s60, s7
	v_lshrrev_b32_e32 v1, 16, v1
	s_addc_u32 s61, s61, 0
	v_mov_b32_e32 v4, 0
	v_add_nc_u32_e32 v3, s6, v1
	v_mov_b32_e32 v2, v3
	buffer_store_dword v2, off, s[60:63], 0 ; 4-byte Folded Spill
	buffer_store_dword v3, off, s[60:63], 0 offset:4 ; 4-byte Folded Spill
	s_waitcnt lgkmcnt(0)
	v_cmp_gt_u64_e32 vcc_lo, s[0:1], v[3:4]
	s_and_saveexec_b32 s0, vcc_lo
	s_cbranch_execz .LBB0_23
; %bb.1:
	s_clause 0x1
	s_load_dwordx2 s[12:13], s[4:5], 0x0
	s_load_dwordx2 s[14:15], s[4:5], 0x38
	v_mul_lo_u16 v1, 0xbb, v1
	v_sub_nc_u16 v0, v0, v1
	v_and_b32_e32 v150, 0xffff, v0
	v_cmp_gt_u16_e32 vcc_lo, 0x6e, v0
	v_lshlrev_b32_e32 v255, 4, v150
	s_and_saveexec_b32 s1, vcc_lo
	s_cbranch_execz .LBB0_3
; %bb.2:
	s_load_dwordx2 s[6:7], s[4:5], 0x18
	s_waitcnt lgkmcnt(0)
	s_clause 0x1
	global_load_dwordx4 v[0:3], v255, s[12:13]
	global_load_dwordx4 v[4:7], v255, s[12:13] offset:1760
	v_add_co_u32 v8, s0, s12, v255
	v_add_co_ci_u32_e64 v9, null, s13, 0, s0
	v_add_co_u32 v10, s0, 0x800, v8
	v_add_co_ci_u32_e64 v11, s0, 0, v9, s0
	v_add_co_u32 v14, s0, 0x1000, v8
	v_add_co_ci_u32_e64 v15, s0, 0, v9, s0
	;; [unrolled: 2-line block ×3, first 2 shown]
	v_add_co_u32 v22, s0, 0x2000, v8
	s_load_dwordx4 s[8:11], s[6:7], 0x0
	s_clause 0x1
	buffer_load_dword v12, off, s[60:63], 0
	buffer_load_dword v13, off, s[60:63], 0 offset:4
	v_add_co_ci_u32_e64 v23, s0, 0, v9, s0
	v_add_co_u32 v26, s0, 0x2800, v8
	v_add_co_ci_u32_e64 v27, s0, 0, v9, s0
	v_add_co_u32 v34, s0, 0x3000, v8
	;; [unrolled: 2-line block ×4, first 2 shown]
	v_add_co_ci_u32_e64 v43, s0, 0, v9, s0
	s_waitcnt lgkmcnt(0)
	v_mad_u64_u32 v[30:31], null, s8, v150, 0
	v_add_co_u32 v46, s0, 0x4800, v8
	v_add_co_ci_u32_e64 v47, s0, 0, v9, s0
	s_mul_i32 s6, s9, 0x6e0
	s_mul_hi_u32 s7, s8, 0x6e0
	s_waitcnt vmcnt(0)
	v_mov_b32_e32 v13, v31
	s_add_i32 s7, s7, s6
	v_mad_u64_u32 v[31:32], null, s9, v150, v[13:14]
	v_lshlrev_b64 v[30:31], 4, v[30:31]
	v_mov_b32_e32 v16, v12
	v_mad_u64_u32 v[28:29], null, s10, v16, 0
	v_mov_b32_e32 v12, v29
	v_mad_u64_u32 v[16:17], null, s11, v16, v[12:13]
	global_load_dwordx4 v[10:13], v[10:11], off offset:1472
	v_mov_b32_e32 v29, v16
	s_clause 0x2
	global_load_dwordx4 v[14:17], v[14:15], off offset:1184
	global_load_dwordx4 v[18:21], v[18:19], off offset:896
	;; [unrolled: 1-line block ×3, first 2 shown]
	v_lshlrev_b64 v[32:33], 4, v[28:29]
	global_load_dwordx4 v[26:29], v[26:27], off offset:320
	v_add_co_u32 v32, s0, s2, v32
	v_add_co_ci_u32_e64 v33, s0, s3, v33, s0
	s_mul_i32 s2, s8, 0x6e0
	v_add_co_u32 v50, s0, v32, v30
	v_add_co_ci_u32_e64 v51, s0, v33, v31, s0
	s_clause 0x1
	global_load_dwordx4 v[30:33], v[34:35], off offset:32
	global_load_dwordx4 v[34:37], v[34:35], off offset:1792
	v_add_co_u32 v54, s0, v50, s2
	v_add_co_ci_u32_e64 v55, s0, s7, v51, s0
	s_clause 0x1
	global_load_dwordx4 v[38:41], v[38:39], off offset:1504
	global_load_dwordx4 v[42:45], v[42:43], off offset:1216
	v_add_co_u32 v58, s0, v54, s2
	v_add_co_ci_u32_e64 v59, s0, s7, v55, s0
	global_load_dwordx4 v[46:49], v[46:47], off offset:928
	v_add_co_u32 v62, s0, v58, s2
	v_add_co_ci_u32_e64 v63, s0, s7, v59, s0
	s_clause 0x1
	global_load_dwordx4 v[50:53], v[50:51], off
	global_load_dwordx4 v[54:57], v[54:55], off
	v_add_co_u32 v66, s0, v62, s2
	v_add_co_ci_u32_e64 v67, s0, s7, v63, s0
	s_clause 0x1
	global_load_dwordx4 v[58:61], v[58:59], off
	global_load_dwordx4 v[62:65], v[62:63], off
	v_add_co_u32 v70, s0, v66, s2
	v_add_co_ci_u32_e64 v71, s0, s7, v67, s0
	global_load_dwordx4 v[66:69], v[66:67], off
	v_add_co_u32 v74, s0, v70, s2
	v_add_co_ci_u32_e64 v75, s0, s7, v71, s0
	;; [unrolled: 3-line block ×4, first 2 shown]
	v_add_co_u32 v86, s0, v82, s2
	v_add_co_ci_u32_e64 v87, s0, s7, v83, s0
	v_add_co_u32 v90, s0, v86, s2
	v_add_co_ci_u32_e64 v91, s0, s7, v87, s0
	;; [unrolled: 2-line block ×3, first 2 shown]
	global_load_dwordx4 v[78:81], v[78:79], off
	global_load_dwordx4 v[82:85], v[82:83], off
	;; [unrolled: 1-line block ×5, first 2 shown]
	v_add_co_u32 v98, s0, v98, s2
	v_add_co_ci_u32_e64 v99, s0, s7, v99, s0
	v_add_co_u32 v102, s0, 0x5000, v8
	v_add_co_ci_u32_e64 v103, s0, 0, v9, s0
	;; [unrolled: 2-line block ×8, first 2 shown]
	v_add_co_u32 v134, s0, v122, s2
	global_load_dwordx4 v[98:101], v[98:99], off
	global_load_dwordx4 v[102:105], v[102:103], off offset:640
	global_load_dwordx4 v[106:109], v[106:107], off
	global_load_dwordx4 v[110:113], v[110:111], off offset:352
	global_load_dwordx4 v[114:117], v[118:119], off
	v_add_co_ci_u32_e64 v135, s0, s7, v123, s0
	global_load_dwordx4 v[118:121], v[126:127], off offset:64
	global_load_dwordx4 v[122:125], v[122:123], off
	s_clause 0x1
	global_load_dwordx4 v[126:129], v[126:127], off offset:1824
	global_load_dwordx4 v[130:133], v[8:9], off offset:1536
	global_load_dwordx4 v[134:137], v[134:135], off
	s_waitcnt vmcnt(21)
	v_mul_f64 v[8:9], v[52:53], v[2:3]
	v_mul_f64 v[2:3], v[50:51], v[2:3]
	s_waitcnt vmcnt(20)
	v_mul_f64 v[138:139], v[56:57], v[6:7]
	v_mul_f64 v[140:141], v[54:55], v[6:7]
	;; [unrolled: 3-line block ×6, first 2 shown]
	v_fma_f64 v[6:7], v[50:51], v[0:1], v[8:9]
	v_fma_f64 v[8:9], v[52:53], v[0:1], -v[2:3]
	v_fma_f64 v[0:1], v[54:55], v[4:5], v[138:139]
	v_fma_f64 v[2:3], v[56:57], v[4:5], -v[140:141]
	s_waitcnt vmcnt(15)
	v_mul_f64 v[4:5], v[76:77], v[28:29]
	v_mul_f64 v[28:29], v[74:75], v[28:29]
	v_fma_f64 v[50:51], v[58:59], v[10:11], v[142:143]
	v_fma_f64 v[52:53], v[60:61], v[10:11], -v[12:13]
	v_fma_f64 v[10:11], v[62:63], v[14:15], v[144:145]
	v_fma_f64 v[12:13], v[64:65], v[14:15], -v[16:17]
	v_fma_f64 v[14:15], v[66:67], v[18:19], v[146:147]
	v_fma_f64 v[16:17], v[68:69], v[18:19], -v[20:21]
	s_waitcnt vmcnt(14)
	v_mul_f64 v[54:55], v[80:81], v[32:33]
	v_mul_f64 v[32:33], v[78:79], v[32:33]
	s_waitcnt vmcnt(13)
	v_mul_f64 v[56:57], v[84:85], v[36:37]
	v_mul_f64 v[36:37], v[82:83], v[36:37]
	;; [unrolled: 3-line block ×5, first 2 shown]
	v_fma_f64 v[18:19], v[70:71], v[22:23], v[148:149]
	v_fma_f64 v[20:21], v[72:73], v[22:23], -v[24:25]
	v_fma_f64 v[22:23], v[74:75], v[26:27], v[4:5]
	v_fma_f64 v[24:25], v[76:77], v[26:27], -v[28:29]
	;; [unrolled: 2-line block ×7, first 2 shown]
	s_waitcnt vmcnt(8)
	v_mul_f64 v[64:65], v[100:101], v[104:105]
	v_mul_f64 v[66:67], v[98:99], v[104:105]
	s_waitcnt vmcnt(6)
	v_mul_f64 v[68:69], v[108:109], v[112:113]
	v_mul_f64 v[70:71], v[106:107], v[112:113]
	;; [unrolled: 3-line block ×5, first 2 shown]
	v_fma_f64 v[46:47], v[98:99], v[102:103], v[64:65]
	v_fma_f64 v[48:49], v[100:101], v[102:103], -v[66:67]
	v_fma_f64 v[54:55], v[106:107], v[110:111], v[68:69]
	v_fma_f64 v[56:57], v[108:109], v[110:111], -v[70:71]
	;; [unrolled: 2-line block ×5, first 2 shown]
	ds_write_b128 v255, v[6:9]
	ds_write_b128 v255, v[0:3] offset:1760
	ds_write_b128 v255, v[50:53] offset:3520
	;; [unrolled: 1-line block ×16, first 2 shown]
.LBB0_3:
	s_or_b32 exec_lo, exec_lo, s1
	s_load_dwordx2 s[0:1], s[4:5], 0x20
	s_waitcnt lgkmcnt(0)
	s_waitcnt_vscnt null, 0x0
	s_barrier
	buffer_gl0_inv
                                        ; implicit-def: $vgpr28_vgpr29
                                        ; implicit-def: $vgpr44_vgpr45
                                        ; implicit-def: $vgpr48_vgpr49
                                        ; implicit-def: $vgpr56_vgpr57
                                        ; implicit-def: $vgpr60_vgpr61
                                        ; implicit-def: $vgpr64_vgpr65
                                        ; implicit-def: $vgpr68_vgpr69
                                        ; implicit-def: $vgpr72_vgpr73
                                        ; implicit-def: $vgpr76_vgpr77
                                        ; implicit-def: $vgpr80_vgpr81
                                        ; implicit-def: $vgpr84_vgpr85
                                        ; implicit-def: $vgpr88_vgpr89
                                        ; implicit-def: $vgpr52_vgpr53
                                        ; implicit-def: $vgpr40_vgpr41
                                        ; implicit-def: $vgpr36_vgpr37
                                        ; implicit-def: $vgpr32_vgpr33
                                        ; implicit-def: $vgpr24_vgpr25
	s_and_saveexec_b32 s2, vcc_lo
	s_cbranch_execz .LBB0_5
; %bb.4:
	ds_read_b128 v[28:31], v255
	ds_read_b128 v[44:47], v255 offset:1760
	ds_read_b128 v[48:51], v255 offset:3520
	;; [unrolled: 1-line block ×16, first 2 shown]
.LBB0_5:
	s_or_b32 exec_lo, exec_lo, s2
	s_waitcnt lgkmcnt(0)
	v_add_f64 v[122:123], v[46:47], -v[26:27]
	v_add_f64 v[130:131], v[44:45], -v[24:25]
	s_mov_b32 s10, 0x5d8e7cdc
	s_mov_b32 s11, 0xbfd71e95
	v_add_f64 v[92:93], v[50:51], -v[34:35]
	v_add_f64 v[94:95], v[48:49], -v[32:33]
	s_mov_b32 s20, 0x2a9d6da3
	s_mov_b32 s21, 0xbfe58eea
	;; [unrolled: 4-line block ×3, first 2 shown]
	v_add_f64 v[120:121], v[44:45], v[24:25]
	v_add_f64 v[128:129], v[46:47], v[26:27]
	s_mov_b32 s6, 0x370991
	s_mov_b32 s7, 0x3fedd6d0
	v_add_f64 v[98:99], v[48:49], v[32:33]
	v_add_f64 v[106:107], v[50:51], v[34:35]
	s_mov_b32 s8, 0x75d4884
	s_mov_b32 s9, 0x3fe7a5f6
	v_add_f64 v[124:125], v[58:59], v[38:39]
	s_mov_b32 s16, 0x2b2883cd
	v_mul_f64 v[0:1], v[122:123], s[10:11]
	v_mul_f64 v[2:3], v[130:131], s[10:11]
	s_mov_b32 s17, 0x3fdc86fa
	v_add_f64 v[110:111], v[62:63], -v[42:43]
	v_mul_f64 v[4:5], v[92:93], s[20:21]
	v_mul_f64 v[6:7], v[94:95], s[20:21]
	v_add_f64 v[183:184], v[60:61], -v[40:41]
	s_mov_b32 s36, 0xeb564b22
	v_mul_f64 v[8:9], v[96:97], s[22:23]
	v_mul_f64 v[12:13], v[132:133], s[22:23]
	s_mov_b32 s37, 0xbfefdd0d
	v_add_f64 v[138:139], v[62:63], v[42:43]
	s_mov_b32 s18, 0x3259b75e
	s_mov_b32 s19, 0x3fb79ee6
	v_add_f64 v[175:176], v[66:67], -v[54:55]
	s_mov_b32 s26, 0x923c349f
	s_mov_b32 s27, 0xbfeec746
	v_add_f64 v[116:117], v[56:57], v[36:37]
	v_add_f64 v[112:113], v[60:61], v[40:41]
	;; [unrolled: 1-line block ×3, first 2 shown]
	s_mov_b32 s24, 0xc61f0d01
	s_mov_b32 s25, 0xbfd183b1
	buffer_store_dword v0, off, s[60:63], 0 offset:104 ; 4-byte Folded Spill
	buffer_store_dword v1, off, s[60:63], 0 offset:108 ; 4-byte Folded Spill
	buffer_store_dword v2, off, s[60:63], 0 offset:120 ; 4-byte Folded Spill
	buffer_store_dword v3, off, s[60:63], 0 offset:124 ; 4-byte Folded Spill
	buffer_store_dword v4, off, s[60:63], 0 offset:24 ; 4-byte Folded Spill
	buffer_store_dword v5, off, s[60:63], 0 offset:28 ; 4-byte Folded Spill
	buffer_store_dword v6, off, s[60:63], 0 offset:40 ; 4-byte Folded Spill
	buffer_store_dword v7, off, s[60:63], 0 offset:44 ; 4-byte Folded Spill
	buffer_store_dword v8, off, s[60:63], 0 offset:72 ; 4-byte Folded Spill
	buffer_store_dword v9, off, s[60:63], 0 offset:76 ; 4-byte Folded Spill
	buffer_store_dword v12, off, s[60:63], 0 offset:88 ; 4-byte Folded Spill
	buffer_store_dword v13, off, s[60:63], 0 offset:92 ; 4-byte Folded Spill
	v_mul_f64 v[10:11], v[110:111], s[36:37]
	buffer_store_dword v10, off, s[60:63], 0 offset:56 ; 4-byte Folded Spill
	buffer_store_dword v11, off, s[60:63], 0 offset:60 ; 4-byte Folded Spill
	v_add_f64 v[227:228], v[64:65], -v[52:53]
	v_add_f64 v[161:162], v[66:67], v[54:55]
	v_add_f64 v[181:182], v[70:71], -v[90:91]
	s_mov_b32 s38, 0x6c9a05f6
	s_mov_b32 s39, 0xbfe9895b
	v_add_f64 v[153:154], v[68:69], v[88:89]
	s_mov_b32 s28, 0x6ed5f1bb
	s_mov_b32 s29, 0xbfe348c8
	v_add_f64 v[245:246], v[68:69], -v[88:89]
	v_add_f64 v[165:166], v[70:71], v[90:91]
	v_add_f64 v[151:152], v[74:75], -v[86:87]
	s_mov_b32 s40, 0x4363dd80
	s_mov_b32 s41, 0xbfe0d888
	v_add_f64 v[146:147], v[72:73], v[84:85]
	s_mov_b32 s30, 0x910ea3b9
	s_mov_b32 s31, 0xbfeb34fa
	;; [unrolled: 8-line block ×3, first 2 shown]
	v_add_f64 v[144:145], v[76:77], -v[80:81]
	v_add_f64 v[177:178], v[78:79], v[82:83]
	v_mul_f64 v[203:204], v[122:123], s[20:21]
	v_mul_f64 v[205:206], v[130:131], s[20:21]
	s_mov_b32 s51, 0x3fe0d888
	s_mov_b32 s50, s40
	;; [unrolled: 1-line block ×10, first 2 shown]
	v_mul_f64 v[223:224], v[122:123], s[22:23]
	v_mul_f64 v[231:232], v[130:131], s[22:23]
	s_mov_b32 s47, 0x3fe58eea
	s_mov_b32 s46, s20
	v_mul_f64 v[251:252], v[122:123], s[36:37]
	v_mul_f64 v[114:115], v[130:131], s[36:37]
	s_mov_b32 s57, 0x3fe9895b
	s_mov_b32 s56, s38
	v_mul_f64 v[163:164], v[122:123], s[26:27]
	v_mul_f64 v[167:168], v[130:131], s[26:27]
	;; [unrolled: 1-line block ×3, first 2 shown]
	s_mov_b32 s45, 0x3fefdd0d
	s_mov_b32 s44, s36
	v_mul_f64 v[195:196], v[132:133], s[46:47]
	v_mul_f64 v[193:194], v[110:111], s[22:23]
	;; [unrolled: 1-line block ×19, first 2 shown]
	v_fma_f64 v[20:21], v[106:107], s[30:31], -v[191:192]
	v_mul_f64 v[233:234], v[173:174], s[42:43]
	v_mul_f64 v[239:240], v[144:145], s[42:43]
	;; [unrolled: 1-line block ×8, first 2 shown]
	v_fma_f64 v[22:23], v[98:99], s[24:25], v[207:208]
	v_mul_f64 v[247:248], v[110:111], s[56:57]
	v_fma_f64 v[100:101], v[106:107], s[24:25], -v[213:214]
	v_mul_f64 v[126:127], v[183:184], s[56:57]
	v_mul_f64 v[136:137], v[227:228], s[10:11]
	;; [unrolled: 1-line block ×4, first 2 shown]
	s_load_dwordx2 s[2:3], s[4:5], 0x8
	v_fma_f64 v[102:103], v[98:99], s[16:17], v[241:242]
	v_fma_f64 v[104:105], v[106:107], s[16:17], -v[249:250]
	v_fma_f64 v[0:1], v[120:121], s[6:7], v[0:1]
	v_fma_f64 v[2:3], v[128:129], s[6:7], -v[2:3]
	;; [unrolled: 2-line block ×3, first 2 shown]
	v_fma_f64 v[8:9], v[116:117], s[16:17], v[8:9]
	v_add_f64 v[0:1], v[28:29], v[0:1]
	v_add_f64 v[2:3], v[30:31], v[2:3]
	v_add_f64 v[0:1], v[4:5], v[0:1]
	v_fma_f64 v[4:5], v[124:125], s[16:17], -v[12:13]
	v_add_f64 v[2:3], v[6:7], v[2:3]
	v_fma_f64 v[6:7], v[112:113], s[18:19], v[10:11]
	v_add_f64 v[0:1], v[8:9], v[0:1]
	v_add_f64 v[2:3], v[4:5], v[2:3]
	v_mul_f64 v[4:5], v[183:184], s[36:37]
	buffer_store_dword v4, off, s[60:63], 0 offset:140 ; 4-byte Folded Spill
	buffer_store_dword v5, off, s[60:63], 0 offset:144 ; 4-byte Folded Spill
	v_add_f64 v[0:1], v[6:7], v[0:1]
	v_fma_f64 v[4:5], v[138:139], s[18:19], -v[4:5]
	v_add_f64 v[2:3], v[4:5], v[2:3]
	v_mul_f64 v[4:5], v[175:176], s[26:27]
	buffer_store_dword v4, off, s[60:63], 0 offset:148 ; 4-byte Folded Spill
	buffer_store_dword v5, off, s[60:63], 0 offset:152 ; 4-byte Folded Spill
	v_fma_f64 v[4:5], v[142:143], s[24:25], v[4:5]
	v_add_f64 v[0:1], v[4:5], v[0:1]
	v_mul_f64 v[4:5], v[227:228], s[26:27]
	buffer_store_dword v4, off, s[60:63], 0 offset:180 ; 4-byte Folded Spill
	buffer_store_dword v5, off, s[60:63], 0 offset:184 ; 4-byte Folded Spill
	v_fma_f64 v[4:5], v[161:162], s[24:25], -v[4:5]
	v_add_f64 v[2:3], v[4:5], v[2:3]
	v_mul_f64 v[4:5], v[181:182], s[38:39]
	buffer_store_dword v4, off, s[60:63], 0 offset:164 ; 4-byte Folded Spill
	buffer_store_dword v5, off, s[60:63], 0 offset:168 ; 4-byte Folded Spill
	v_fma_f64 v[4:5], v[153:154], s[28:29], v[4:5]
	v_add_f64 v[0:1], v[4:5], v[0:1]
	v_mul_f64 v[4:5], v[245:246], s[38:39]
	buffer_store_dword v4, off, s[60:63], 0 offset:188 ; 4-byte Folded Spill
	buffer_store_dword v5, off, s[60:63], 0 offset:192 ; 4-byte Folded Spill
	v_fma_f64 v[4:5], v[165:166], s[28:29], -v[4:5]
	v_add_f64 v[2:3], v[4:5], v[2:3]
	v_mul_f64 v[4:5], v[151:152], s[40:41]
	buffer_store_dword v4, off, s[60:63], 0 offset:156 ; 4-byte Folded Spill
	buffer_store_dword v5, off, s[60:63], 0 offset:160 ; 4-byte Folded Spill
	v_fma_f64 v[4:5], v[146:147], s[30:31], v[4:5]
	v_add_f64 v[0:1], v[4:5], v[0:1]
	v_mul_f64 v[4:5], v[253:254], s[40:41]
	buffer_store_dword v4, off, s[60:63], 0 offset:172 ; 4-byte Folded Spill
	buffer_store_dword v5, off, s[60:63], 0 offset:176 ; 4-byte Folded Spill
	v_fma_f64 v[4:5], v[157:158], s[30:31], -v[4:5]
	v_add_f64 v[2:3], v[4:5], v[2:3]
	v_mul_f64 v[4:5], v[173:174], s[54:55]
	buffer_store_dword v4, off, s[60:63], 0 offset:196 ; 4-byte Folded Spill
	buffer_store_dword v5, off, s[60:63], 0 offset:200 ; 4-byte Folded Spill
	v_fma_f64 v[4:5], v[169:170], s[34:35], v[4:5]
	v_add_f64 v[0:1], v[4:5], v[0:1]
	v_mul_f64 v[4:5], v[144:145], s[54:55]
	buffer_store_dword v4, off, s[60:63], 0 offset:204 ; 4-byte Folded Spill
	buffer_store_dword v5, off, s[60:63], 0 offset:208 ; 4-byte Folded Spill
	v_fma_f64 v[4:5], v[177:178], s[34:35], -v[4:5]
	v_add_f64 v[2:3], v[4:5], v[2:3]
	v_fma_f64 v[4:5], v[120:121], s[8:9], v[203:204]
	buffer_store_dword v0, off, s[60:63], 0 offset:8 ; 4-byte Folded Spill
	buffer_store_dword v1, off, s[60:63], 0 offset:12 ; 4-byte Folded Spill
	;; [unrolled: 1-line block ×4, first 2 shown]
	v_mul_f64 v[0:1], v[92:93], s[36:37]
	v_add_f64 v[4:5], v[28:29], v[4:5]
	v_mul_f64 v[2:3], v[173:174], s[48:49]
	buffer_store_dword v0, off, s[60:63], 0 offset:380 ; 4-byte Folded Spill
	buffer_store_dword v1, off, s[60:63], 0 offset:384 ; 4-byte Folded Spill
	v_fma_f64 v[6:7], v[98:99], s[18:19], v[0:1]
	v_mul_f64 v[0:1], v[94:95], s[36:37]
	buffer_store_dword v0, off, s[60:63], 0 offset:404 ; 4-byte Folded Spill
	buffer_store_dword v1, off, s[60:63], 0 offset:408 ; 4-byte Folded Spill
	v_add_f64 v[4:5], v[6:7], v[4:5]
	v_fma_f64 v[6:7], v[128:129], s[8:9], -v[205:206]
	v_add_f64 v[6:7], v[30:31], v[6:7]
	v_fma_f64 v[8:9], v[106:107], s[18:19], -v[0:1]
	v_mul_f64 v[0:1], v[96:97], s[38:39]
	buffer_store_dword v0, off, s[60:63], 0 offset:372 ; 4-byte Folded Spill
	buffer_store_dword v1, off, s[60:63], 0 offset:376 ; 4-byte Folded Spill
	v_add_f64 v[6:7], v[8:9], v[6:7]
	v_fma_f64 v[8:9], v[116:117], s[28:29], v[0:1]
	v_mul_f64 v[0:1], v[132:133], s[38:39]
	buffer_store_dword v0, off, s[60:63], 0 offset:388 ; 4-byte Folded Spill
	buffer_store_dword v1, off, s[60:63], 0 offset:392 ; 4-byte Folded Spill
	v_add_f64 v[4:5], v[8:9], v[4:5]
	v_fma_f64 v[8:9], v[124:125], s[28:29], -v[0:1]
	v_mul_f64 v[0:1], v[110:111], s[54:55]
	buffer_store_dword v0, off, s[60:63], 0 offset:348 ; 4-byte Folded Spill
	buffer_store_dword v1, off, s[60:63], 0 offset:352 ; 4-byte Folded Spill
	v_add_f64 v[6:7], v[8:9], v[6:7]
	v_fma_f64 v[8:9], v[112:113], s[34:35], v[0:1]
	v_mul_f64 v[0:1], v[183:184], s[54:55]
	buffer_store_dword v0, off, s[60:63], 0 offset:364 ; 4-byte Folded Spill
	buffer_store_dword v1, off, s[60:63], 0 offset:368 ; 4-byte Folded Spill
	;; [unrolled: 10-line block ×5, first 2 shown]
	v_add_f64 v[4:5], v[8:9], v[4:5]
	v_fma_f64 v[8:9], v[157:158], s[16:17], -v[0:1]
	v_mul_f64 v[0:1], v[144:145], s[48:49]
	buffer_store_dword v0, off, s[60:63], 0 offset:212 ; 4-byte Folded Spill
	buffer_store_dword v1, off, s[60:63], 0 offset:216 ; 4-byte Folded Spill
	v_add_f64 v[6:7], v[8:9], v[6:7]
	v_fma_f64 v[8:9], v[169:170], s[6:7], v[2:3]
	v_add_f64 v[4:5], v[8:9], v[4:5]
	v_fma_f64 v[8:9], v[177:178], s[6:7], -v[0:1]
	v_mul_f64 v[0:1], v[92:93], s[38:39]
	buffer_store_dword v0, off, s[60:63], 0 offset:460 ; 4-byte Folded Spill
	buffer_store_dword v1, off, s[60:63], 0 offset:464 ; 4-byte Folded Spill
	v_add_f64 v[6:7], v[8:9], v[6:7]
	v_fma_f64 v[8:9], v[120:121], s[16:17], v[223:224]
	v_add_f64 v[8:9], v[28:29], v[8:9]
	v_fma_f64 v[10:11], v[98:99], s[28:29], v[0:1]
	v_mul_f64 v[0:1], v[94:95], s[38:39]
	buffer_store_dword v0, off, s[60:63], 0 offset:492 ; 4-byte Folded Spill
	buffer_store_dword v1, off, s[60:63], 0 offset:496 ; 4-byte Folded Spill
	v_add_f64 v[8:9], v[10:11], v[8:9]
	v_fma_f64 v[10:11], v[128:129], s[16:17], -v[231:232]
	v_add_f64 v[10:11], v[30:31], v[10:11]
	v_fma_f64 v[12:13], v[106:107], s[28:29], -v[0:1]
	v_mul_f64 v[0:1], v[96:97], s[58:59]
	buffer_store_dword v0, off, s[60:63], 0 offset:476 ; 4-byte Folded Spill
	buffer_store_dword v1, off, s[60:63], 0 offset:480 ; 4-byte Folded Spill
	v_add_f64 v[10:11], v[12:13], v[10:11]
	v_fma_f64 v[12:13], v[116:117], s[34:35], v[0:1]
	v_mul_f64 v[0:1], v[132:133], s[58:59]
	buffer_store_dword v0, off, s[60:63], 0 offset:500 ; 4-byte Folded Spill
	buffer_store_dword v1, off, s[60:63], 0 offset:504 ; 4-byte Folded Spill
	v_add_f64 v[8:9], v[12:13], v[8:9]
	v_fma_f64 v[12:13], v[124:125], s[34:35], -v[0:1]
	v_mul_f64 v[0:1], v[110:111], s[52:53]
	buffer_store_dword v0, off, s[60:63], 0 offset:452 ; 4-byte Folded Spill
	buffer_store_dword v1, off, s[60:63], 0 offset:456 ; 4-byte Folded Spill
	v_add_f64 v[10:11], v[12:13], v[10:11]
	v_fma_f64 v[12:13], v[112:113], s[24:25], v[0:1]
	v_mul_f64 v[0:1], v[183:184], s[52:53]
	buffer_store_dword v0, off, s[60:63], 0 offset:508 ; 4-byte Folded Spill
	buffer_store_dword v1, off, s[60:63], 0 offset:512 ; 4-byte Folded Spill
	;; [unrolled: 10-line block ×6, first 2 shown]
	v_add_f64 v[8:9], v[12:13], v[8:9]
	v_fma_f64 v[12:13], v[177:178], s[30:31], -v[0:1]
	v_mul_f64 v[0:1], v[92:93], s[54:55]
	buffer_store_dword v0, off, s[60:63], 0 offset:524 ; 4-byte Folded Spill
	buffer_store_dword v1, off, s[60:63], 0 offset:528 ; 4-byte Folded Spill
	v_add_f64 v[10:11], v[12:13], v[10:11]
	v_fma_f64 v[12:13], v[120:121], s[18:19], v[251:252]
	v_add_f64 v[12:13], v[28:29], v[12:13]
	v_fma_f64 v[14:15], v[98:99], s[34:35], v[0:1]
	v_mul_f64 v[0:1], v[94:95], s[54:55]
	buffer_store_dword v0, off, s[60:63], 0 offset:540 ; 4-byte Folded Spill
	buffer_store_dword v1, off, s[60:63], 0 offset:544 ; 4-byte Folded Spill
	v_add_f64 v[12:13], v[14:15], v[12:13]
	v_fma_f64 v[14:15], v[128:129], s[18:19], -v[114:115]
	v_add_f64 v[14:15], v[30:31], v[14:15]
	v_fma_f64 v[16:17], v[106:107], s[34:35], -v[0:1]
	v_mul_f64 v[0:1], v[96:97], s[52:53]
	buffer_store_dword v0, off, s[60:63], 0 offset:532 ; 4-byte Folded Spill
	buffer_store_dword v1, off, s[60:63], 0 offset:536 ; 4-byte Folded Spill
	v_add_f64 v[14:15], v[16:17], v[14:15]
	v_fma_f64 v[16:17], v[116:117], s[24:25], v[0:1]
	v_mul_f64 v[0:1], v[132:133], s[52:53]
	buffer_store_dword v0, off, s[60:63], 0 offset:556 ; 4-byte Folded Spill
	buffer_store_dword v1, off, s[60:63], 0 offset:560 ; 4-byte Folded Spill
	v_add_f64 v[12:13], v[16:17], v[12:13]
	v_fma_f64 v[16:17], v[124:125], s[24:25], -v[0:1]
	v_mul_f64 v[0:1], v[110:111], s[48:49]
	buffer_store_dword v0, off, s[60:63], 0 offset:548 ; 4-byte Folded Spill
	buffer_store_dword v1, off, s[60:63], 0 offset:552 ; 4-byte Folded Spill
	v_add_f64 v[14:15], v[16:17], v[14:15]
	v_fma_f64 v[16:17], v[112:113], s[6:7], v[0:1]
	v_mul_f64 v[0:1], v[183:184], s[48:49]
	buffer_store_dword v0, off, s[60:63], 0 offset:572 ; 4-byte Folded Spill
	buffer_store_dword v1, off, s[60:63], 0 offset:576 ; 4-byte Folded Spill
	;; [unrolled: 10-line block ×6, first 2 shown]
	v_add_f64 v[12:13], v[16:17], v[12:13]
	v_fma_f64 v[16:17], v[177:178], s[8:9], -v[0:1]
	v_mul_f64 v[0:1], v[92:93], s[50:51]
	buffer_store_dword v0, off, s[60:63], 0 offset:588 ; 4-byte Folded Spill
	buffer_store_dword v1, off, s[60:63], 0 offset:592 ; 4-byte Folded Spill
	v_add_f64 v[14:15], v[16:17], v[14:15]
	v_fma_f64 v[16:17], v[120:121], s[24:25], v[163:164]
	v_add_f64 v[16:17], v[28:29], v[16:17]
	v_fma_f64 v[18:19], v[98:99], s[30:31], v[0:1]
	v_mul_f64 v[0:1], v[96:97], s[46:47]
	buffer_store_dword v0, off, s[60:63], 0 offset:596 ; 4-byte Folded Spill
	buffer_store_dword v1, off, s[60:63], 0 offset:600 ; 4-byte Folded Spill
	v_add_f64 v[16:17], v[18:19], v[16:17]
	v_fma_f64 v[18:19], v[128:129], s[24:25], -v[167:168]
	v_add_f64 v[18:19], v[30:31], v[18:19]
	v_add_f64 v[18:19], v[20:21], v[18:19]
	v_fma_f64 v[20:21], v[116:117], s[8:9], v[0:1]
	v_mul_f64 v[0:1], v[181:182], s[44:45]
	buffer_store_dword v0, off, s[60:63], 0 offset:468 ; 4-byte Folded Spill
	buffer_store_dword v1, off, s[60:63], 0 offset:472 ; 4-byte Folded Spill
	v_add_f64 v[16:17], v[20:21], v[16:17]
	v_fma_f64 v[20:21], v[124:125], s[8:9], -v[195:196]
	v_add_f64 v[18:19], v[20:21], v[18:19]
	v_fma_f64 v[20:21], v[112:113], s[16:17], v[193:194]
	v_add_f64 v[16:17], v[20:21], v[16:17]
	v_fma_f64 v[20:21], v[138:139], s[16:17], -v[199:200]
	v_add_f64 v[18:19], v[20:21], v[18:19]
	v_fma_f64 v[20:21], v[142:143], s[34:35], v[197:198]
	;; [unrolled: 4-line block ×3, first 2 shown]
	v_mul_f64 v[0:1], v[245:246], s[44:45]
	buffer_store_dword v0, off, s[60:63], 0 offset:484 ; 4-byte Folded Spill
	buffer_store_dword v1, off, s[60:63], 0 offset:488 ; 4-byte Folded Spill
	v_add_f64 v[16:17], v[20:21], v[16:17]
	v_fma_f64 v[20:21], v[165:166], s[18:19], -v[0:1]
	v_mul_f64 v[0:1], v[151:152], s[10:11]
	buffer_store_dword v0, off, s[60:63], 0 offset:436 ; 4-byte Folded Spill
	buffer_store_dword v1, off, s[60:63], 0 offset:440 ; 4-byte Folded Spill
	v_add_f64 v[18:19], v[20:21], v[18:19]
	v_fma_f64 v[20:21], v[146:147], s[6:7], v[0:1]
	v_mul_f64 v[0:1], v[253:254], s[10:11]
	buffer_store_dword v0, off, s[60:63], 0 offset:444 ; 4-byte Folded Spill
	buffer_store_dword v1, off, s[60:63], 0 offset:448 ; 4-byte Folded Spill
	v_add_f64 v[16:17], v[20:21], v[16:17]
	v_fma_f64 v[20:21], v[157:158], s[6:7], -v[0:1]
	v_mul_f64 v[0:1], v[173:174], s[38:39]
	buffer_store_dword v0, off, s[60:63], 0 offset:420 ; 4-byte Folded Spill
	buffer_store_dword v1, off, s[60:63], 0 offset:424 ; 4-byte Folded Spill
	v_add_f64 v[18:19], v[20:21], v[18:19]
	v_fma_f64 v[20:21], v[169:170], s[28:29], v[0:1]
	v_mul_f64 v[0:1], v[144:145], s[38:39]
	buffer_store_dword v0, off, s[60:63], 0 offset:428 ; 4-byte Folded Spill
	buffer_store_dword v1, off, s[60:63], 0 offset:432 ; 4-byte Folded Spill
	v_add_f64 v[16:17], v[20:21], v[16:17]
	s_waitcnt lgkmcnt(0)
	s_waitcnt_vscnt null, 0x0
	s_barrier
	buffer_gl0_inv
	v_fma_f64 v[20:21], v[177:178], s[28:29], -v[0:1]
	v_mul_lo_u16 v0, v150, 17
	buffer_store_dword v0, off, s[60:63], 0 offset:136 ; 4-byte Folded Spill
	v_add_f64 v[18:19], v[20:21], v[18:19]
	v_fma_f64 v[20:21], v[120:121], s[28:29], v[171:172]
	v_add_f64 v[20:21], v[28:29], v[20:21]
	v_add_f64 v[20:21], v[22:23], v[20:21]
	v_fma_f64 v[22:23], v[128:129], s[28:29], -v[179:180]
	v_add_f64 v[22:23], v[30:31], v[22:23]
	v_add_f64 v[22:23], v[100:101], v[22:23]
	v_fma_f64 v[100:101], v[116:117], s[6:7], v[209:210]
	v_add_f64 v[20:21], v[100:101], v[20:21]
	v_fma_f64 v[100:101], v[124:125], s[6:7], -v[217:218]
	v_add_f64 v[22:23], v[100:101], v[22:23]
	v_fma_f64 v[100:101], v[112:113], s[30:31], v[211:212]
	v_add_f64 v[20:21], v[100:101], v[20:21]
	v_fma_f64 v[100:101], v[138:139], s[30:31], -v[221:222]
	;; [unrolled: 4-line block ×6, first 2 shown]
	v_add_f64 v[22:23], v[100:101], v[22:23]
	v_fma_f64 v[100:101], v[120:121], s[30:31], v[185:186]
	v_add_f64 v[100:101], v[28:29], v[100:101]
	v_add_f64 v[100:101], v[102:103], v[100:101]
	v_fma_f64 v[102:103], v[128:129], s[30:31], -v[187:188]
	v_add_f64 v[102:103], v[30:31], v[102:103]
	v_add_f64 v[102:103], v[104:105], v[102:103]
	v_fma_f64 v[104:105], v[116:117], s[18:19], v[243:244]
	v_add_f64 v[100:101], v[104:105], v[100:101]
	v_fma_f64 v[104:105], v[124:125], s[18:19], -v[108:109]
	v_add_f64 v[102:103], v[104:105], v[102:103]
	v_fma_f64 v[104:105], v[112:113], s[28:29], v[247:248]
	v_add_f64 v[100:101], v[104:105], v[100:101]
	v_fma_f64 v[104:105], v[138:139], s[28:29], -v[126:127]
	v_add_f64 v[102:103], v[104:105], v[102:103]
	v_mul_f64 v[104:105], v[175:176], s[10:11]
	v_fma_f64 v[118:119], v[142:143], s[6:7], v[104:105]
	v_add_f64 v[100:101], v[118:119], v[100:101]
	v_fma_f64 v[118:119], v[161:162], s[6:7], -v[136:137]
	v_add_f64 v[102:103], v[118:119], v[102:103]
	v_mul_f64 v[118:119], v[181:182], s[54:55]
	;; [unrolled: 5-line block ×4, first 2 shown]
	v_fma_f64 v[159:160], v[169:170], s[24:25], v[140:141]
	v_add_f64 v[100:101], v[159:160], v[100:101]
	v_mul_f64 v[159:160], v[144:145], s[26:27]
	v_fma_f64 v[189:190], v[177:178], s[24:25], -v[159:160]
	v_add_f64 v[102:103], v[189:190], v[102:103]
	s_and_saveexec_b32 s4, vcc_lo
	s_cbranch_execz .LBB0_7
; %bb.6:
	s_clause 0x1
	buffer_load_dword v0, off, s[60:63], 0 offset:120
	buffer_load_dword v1, off, s[60:63], 0 offset:124
	v_add_f64 v[44:45], v[28:29], v[44:45]
	v_add_f64 v[46:47], v[30:31], v[46:47]
	v_mul_f64 v[189:190], v[153:154], s[8:9]
	v_mul_f64 v[92:93], v[92:93], s[48:49]
	;; [unrolled: 1-line block ×3, first 2 shown]
	v_add_f64 v[44:45], v[44:45], v[48:49]
	v_add_f64 v[46:47], v[46:47], v[50:51]
	v_mul_f64 v[50:51], v[120:121], s[28:29]
	v_add_f64 v[189:190], v[189:190], -v[219:220]
	v_mul_f64 v[219:220], v[124:125], s[24:25]
	v_add_f64 v[44:45], v[44:45], v[56:57]
	v_add_f64 v[46:47], v[46:47], v[58:59]
	v_add_f64 v[50:51], v[50:51], -v[171:172]
	v_mul_f64 v[56:57], v[128:129], s[18:19]
	v_mul_f64 v[58:59], v[120:121], s[18:19]
	v_add_f64 v[44:45], v[44:45], v[60:61]
	v_add_f64 v[46:47], v[46:47], v[62:63]
	v_mul_f64 v[62:63], v[120:121], s[16:17]
	v_add_f64 v[56:57], v[114:115], v[56:57]
	v_mul_f64 v[60:61], v[128:129], s[16:17]
	v_add_f64 v[58:59], v[58:59], -v[251:252]
	v_mul_f64 v[251:252], v[116:117], s[28:29]
	v_add_f64 v[50:51], v[28:29], v[50:51]
	v_add_f64 v[44:45], v[44:45], v[64:65]
	;; [unrolled: 1-line block ×3, first 2 shown]
	v_mul_f64 v[64:65], v[128:129], s[8:9]
	v_mul_f64 v[66:67], v[120:121], s[8:9]
	v_add_f64 v[62:63], v[62:63], -v[223:224]
	v_mul_f64 v[223:224], v[142:143], s[16:17]
	v_add_f64 v[60:61], v[231:232], v[60:61]
	v_mul_f64 v[231:232], v[106:107], s[28:29]
	v_add_f64 v[58:59], v[28:29], v[58:59]
	v_add_f64 v[56:57], v[30:31], v[56:57]
	v_add_f64 v[44:45], v[44:45], v[68:69]
	v_mul_f64 v[68:69], v[128:129], s[6:7]
	v_add_f64 v[46:47], v[46:47], v[70:71]
	v_add_f64 v[64:65], v[205:206], v[64:65]
	v_mul_f64 v[205:206], v[112:113], s[30:31]
	v_mul_f64 v[70:71], v[122:123], s[54:55]
	v_add_f64 v[66:67], v[66:67], -v[203:204]
	v_mul_f64 v[203:204], v[142:143], s[18:19]
	v_add_f64 v[62:63], v[28:29], v[62:63]
	v_add_f64 v[60:61], v[30:31], v[60:61]
	v_add_f64 v[44:45], v[44:45], v[72:73]
	v_add_f64 v[46:47], v[46:47], v[74:75]
	v_mul_f64 v[74:75], v[120:121], s[6:7]
	v_add_f64 v[205:206], v[205:206], -v[211:212]
	v_mul_f64 v[211:212], v[116:117], s[6:7]
	v_fma_f64 v[72:73], v[120:121], s[34:35], v[70:71]
	v_fma_f64 v[70:71], v[120:121], s[34:35], -v[70:71]
	v_add_f64 v[203:204], v[203:204], -v[215:216]
	v_mul_f64 v[215:216], v[161:162], s[16:17]
	v_add_f64 v[66:67], v[28:29], v[66:67]
	v_add_f64 v[64:65], v[30:31], v[64:65]
	v_add_f64 v[44:45], v[44:45], v[76:77]
	v_add_f64 v[46:47], v[46:47], v[78:79]
	v_add_f64 v[209:210], v[211:212], -v[209:210]
	v_mul_f64 v[211:212], v[98:99], s[24:25]
	v_add_f64 v[72:73], v[28:29], v[72:73]
	v_add_f64 v[70:71], v[28:29], v[70:71]
	v_add_f64 v[44:45], v[44:45], v[80:81]
	v_add_f64 v[46:47], v[46:47], v[82:83]
	;; [unrolled: 6-line block ×3, first 2 shown]
	v_mul_f64 v[211:212], v[138:139], s[16:17]
	v_add_f64 v[48:49], v[44:45], v[88:89]
	v_add_f64 v[46:47], v[46:47], v[90:91]
	;; [unrolled: 1-line block ×4, first 2 shown]
	v_mul_f64 v[211:212], v[124:125], s[8:9]
	v_add_f64 v[44:45], v[46:47], v[54:55]
	v_add_f64 v[46:47], v[48:49], v[52:53]
	v_mul_f64 v[52:53], v[128:129], s[24:25]
	v_mul_f64 v[48:49], v[128:129], s[28:29]
	v_mul_f64 v[54:55], v[120:121], s[24:25]
	v_add_f64 v[50:51], v[205:206], v[50:51]
	v_add_f64 v[195:196], v[195:196], v[211:212]
	v_mul_f64 v[211:212], v[106:107], s[30:31]
	v_add_f64 v[42:43], v[44:45], v[42:43]
	v_add_f64 v[40:41], v[46:47], v[40:41]
	v_mul_f64 v[44:45], v[128:129], s[30:31]
	v_add_f64 v[52:53], v[167:168], v[52:53]
	v_mul_f64 v[46:47], v[120:121], s[30:31]
	v_add_f64 v[48:49], v[179:180], v[48:49]
	v_add_f64 v[54:55], v[54:55], -v[163:164]
	v_add_f64 v[50:51], v[203:204], v[50:51]
	v_add_f64 v[191:192], v[191:192], v[211:212]
	v_mul_f64 v[211:212], v[142:143], s[34:35]
	v_add_f64 v[38:39], v[42:43], v[38:39]
	v_add_f64 v[36:37], v[40:41], v[36:37]
	;; [unrolled: 1-line block ×3, first 2 shown]
	v_mul_f64 v[40:41], v[128:129], s[34:35]
	v_add_f64 v[46:47], v[46:47], -v[185:186]
	v_add_f64 v[48:49], v[30:31], v[48:49]
	v_add_f64 v[54:55], v[28:29], v[54:55]
	;; [unrolled: 1-line block ×4, first 2 shown]
	v_add_f64 v[197:198], v[211:212], -v[197:198]
	v_mul_f64 v[211:212], v[112:113], s[16:17]
	v_add_f64 v[80:81], v[30:31], v[44:45]
	v_mul_f64 v[44:45], v[157:158], s[34:35]
	v_add_f64 v[82:83], v[28:29], v[46:47]
	v_mul_f64 v[46:47], v[146:147], s[34:35]
	v_fma_f64 v[42:43], v[130:131], s[58:59], v[40:41]
	v_fma_f64 v[40:41], v[130:131], s[54:55], v[40:41]
	v_add_f64 v[52:53], v[191:192], v[52:53]
	s_waitcnt vmcnt(0)
	v_add_f64 v[68:69], v[0:1], v[68:69]
	s_clause 0x1
	buffer_load_dword v0, off, s[60:63], 0 offset:104
	buffer_load_dword v1, off, s[60:63], 0 offset:108
	v_add_f64 v[193:194], v[211:212], -v[193:194]
	v_mul_f64 v[211:212], v[116:117], s[8:9]
	v_add_f64 v[167:168], v[237:238], v[44:45]
	v_mul_f64 v[44:45], v[165:166], s[8:9]
	v_add_f64 v[46:47], v[46:47], -v[225:226]
	v_mul_f64 v[225:226], v[98:99], s[34:35]
	v_mul_f64 v[237:238], v[161:162], s[8:9]
	v_add_f64 v[76:77], v[30:31], v[42:43]
	v_mul_f64 v[42:43], v[153:154], s[34:35]
	v_add_f64 v[78:79], v[30:31], v[40:41]
	;; [unrolled: 2-line block ×4, first 2 shown]
	v_add_f64 v[171:172], v[235:236], v[44:45]
	v_mul_f64 v[44:45], v[161:162], s[18:19]
	v_mul_f64 v[235:236], v[138:139], s[24:25]
	v_add_f64 v[118:119], v[42:43], -v[118:119]
	v_mul_f64 v[42:43], v[142:143], s[6:7]
	v_add_f64 v[40:41], v[40:41], -v[134:135]
	v_add_f64 v[52:53], v[199:200], v[52:53]
	v_add_f64 v[179:180], v[229:230], v[44:45]
	v_mul_f64 v[44:45], v[138:139], s[30:31]
	v_mul_f64 v[229:230], v[112:113], s[6:7]
	v_add_f64 v[104:105], v[42:43], -v[104:105]
	v_mul_f64 v[42:43], v[112:113], s[28:29]
	v_add_f64 v[52:53], v[201:202], v[52:53]
	v_add_f64 v[134:135], v[42:43], -v[247:248]
	v_mul_f64 v[42:43], v[116:117], s[18:19]
	v_fma_f64 v[247:248], v[98:99], s[6:7], v[92:93]
	v_fma_f64 v[92:93], v[98:99], s[6:7], -v[92:93]
	v_add_f64 v[72:73], v[247:248], v[72:73]
	v_add_f64 v[70:71], v[92:93], v[70:71]
	v_mul_f64 v[92:93], v[138:139], s[18:19]
	s_waitcnt vmcnt(0)
	v_add_f64 v[74:75], v[74:75], -v[0:1]
	v_add_f64 v[0:1], v[38:39], v[34:35]
	v_mul_f64 v[34:35], v[177:178], s[18:19]
	buffer_store_dword v0, off, s[60:63], 0 offset:104 ; 4-byte Folded Spill
	buffer_store_dword v1, off, s[60:63], 0 offset:108 ; 4-byte Folded Spill
	v_add_f64 v[0:1], v[36:37], v[32:33]
	v_mul_f64 v[36:37], v[157:158], s[24:25]
	v_fma_f64 v[32:33], v[144:145], s[36:37], v[34:35]
	v_fma_f64 v[34:35], v[144:145], s[44:45], v[34:35]
	v_add_f64 v[74:75], v[28:29], v[74:75]
	v_mul_f64 v[28:29], v[112:113], s[24:25]
	buffer_store_dword v0, off, s[60:63], 0 offset:120 ; 4-byte Folded Spill
	buffer_store_dword v1, off, s[60:63], 0 offset:124 ; 4-byte Folded Spill
	s_clause 0x1
	buffer_load_dword v0, off, s[60:63], 0 offset:596
	buffer_load_dword v1, off, s[60:63], 0 offset:600
	v_fma_f64 v[84:85], v[253:254], s[52:53], v[36:37]
	v_fma_f64 v[86:87], v[253:254], s[26:27], v[36:37]
	v_mul_f64 v[36:37], v[165:166], s[16:17]
	v_fma_f64 v[253:254], v[116:117], s[30:31], v[96:97]
	v_fma_f64 v[96:97], v[116:117], s[30:31], -v[96:97]
	v_fma_f64 v[88:89], v[245:246], s[22:23], v[36:37]
	v_fma_f64 v[90:91], v[245:246], s[42:43], v[36:37]
	v_mul_f64 v[36:37], v[161:162], s[28:29]
	v_mul_f64 v[245:246], v[116:117], s[34:35]
	v_add_f64 v[70:71], v[96:97], v[70:71]
	v_add_f64 v[72:73], v[253:254], v[72:73]
	v_fma_f64 v[114:115], v[227:228], s[56:57], v[36:37]
	v_fma_f64 v[120:121], v[227:228], s[38:39], v[36:37]
	v_mul_f64 v[36:37], v[138:139], s[8:9]
	v_mul_f64 v[227:228], v[116:117], s[24:25]
	;; [unrolled: 1-line block ×3, first 2 shown]
	v_fma_f64 v[122:123], v[183:184], s[20:21], v[36:37]
	v_fma_f64 v[128:129], v[183:184], s[46:47], v[36:37]
	v_add_f64 v[183:184], v[221:222], v[44:45]
	v_mul_f64 v[44:45], v[124:125], s[6:7]
	v_mul_f64 v[221:222], v[106:107], s[34:35]
	;; [unrolled: 1-line block ×3, first 2 shown]
	v_add_f64 v[185:186], v[217:218], v[44:45]
	v_mul_f64 v[44:45], v[106:107], s[24:25]
	v_mul_f64 v[217:218], v[138:139], s[6:7]
	v_fma_f64 v[130:131], v[132:133], s[50:51], v[36:37]
	v_fma_f64 v[132:133], v[132:133], s[40:41], v[36:37]
	v_mul_f64 v[36:37], v[106:107], s[6:7]
	v_add_f64 v[187:188], v[213:214], v[44:45]
	v_mul_f64 v[213:214], v[98:99], s[30:31]
	v_mul_f64 v[44:45], v[169:170], s[16:17]
	v_fma_f64 v[144:145], v[94:95], s[10:11], v[36:37]
	v_fma_f64 v[94:95], v[94:95], s[48:49], v[36:37]
	v_mul_f64 v[36:37], v[177:178], s[24:25]
	v_add_f64 v[48:49], v[187:188], v[48:49]
	v_add_f64 v[44:45], v[44:45], -v[233:234]
	v_mul_f64 v[233:234], v[124:125], s[34:35]
	v_add_f64 v[76:77], v[144:145], v[76:77]
	v_mul_f64 v[144:145], v[112:113], s[34:35]
	v_add_f64 v[38:39], v[159:160], v[36:37]
	;; [unrolled: 2-line block ×3, first 2 shown]
	v_mul_f64 v[94:95], v[110:111], s[46:47]
	v_mul_f64 v[110:111], v[157:158], s[16:17]
	v_add_f64 v[48:49], v[185:186], v[48:49]
	v_add_f64 v[76:77], v[130:131], v[76:77]
	;; [unrolled: 1-line block ×3, first 2 shown]
	v_mul_f64 v[36:37], v[165:166], s[34:35]
	v_add_f64 v[78:79], v[132:133], v[78:79]
	v_fma_f64 v[96:97], v[112:113], s[8:9], v[94:95]
	v_fma_f64 v[94:95], v[112:113], s[8:9], -v[94:95]
	v_add_f64 v[48:49], v[183:184], v[48:49]
	v_add_f64 v[76:77], v[122:123], v[76:77]
	;; [unrolled: 1-line block ×3, first 2 shown]
	v_mul_f64 v[36:37], v[161:162], s[6:7]
	v_add_f64 v[78:79], v[128:129], v[78:79]
	v_add_f64 v[70:71], v[94:95], v[70:71]
	v_mul_f64 v[94:95], v[175:176], s[38:39]
	v_add_f64 v[72:73], v[96:97], v[72:73]
	v_add_f64 v[48:49], v[179:180], v[48:49]
	v_add_f64 v[76:77], v[114:115], v[76:77]
	v_add_f64 v[136:137], v[136:137], v[36:37]
	v_mul_f64 v[36:37], v[138:139], s[28:29]
	v_add_f64 v[78:79], v[120:121], v[78:79]
	v_fma_f64 v[96:97], v[142:143], s[28:29], v[94:95]
	v_fma_f64 v[94:95], v[142:143], s[28:29], -v[94:95]
	v_mul_f64 v[120:121], v[169:170], s[34:35]
	v_add_f64 v[48:49], v[171:172], v[48:49]
	v_add_f64 v[76:77], v[88:89], v[76:77]
	v_mul_f64 v[88:89], v[181:182], s[42:43]
	v_add_f64 v[126:127], v[126:127], v[36:37]
	v_mul_f64 v[36:37], v[124:125], s[18:19]
	v_add_f64 v[78:79], v[90:91], v[78:79]
	v_add_f64 v[70:71], v[94:95], v[70:71]
	v_mul_f64 v[90:91], v[142:143], s[24:25]
	v_add_f64 v[72:73], v[96:97], v[72:73]
	v_mul_f64 v[96:97], v[153:154], s[30:31]
	v_add_f64 v[48:49], v[167:168], v[48:49]
	v_add_f64 v[76:77], v[84:85], v[76:77]
	v_mul_f64 v[84:85], v[112:113], s[18:19]
	v_fma_f64 v[94:95], v[153:154], s[16:17], v[88:89]
	v_fma_f64 v[88:89], v[153:154], s[16:17], -v[88:89]
	v_mul_f64 v[112:113], v[157:158], s[30:31]
	v_add_f64 v[108:109], v[108:109], v[36:37]
	v_mul_f64 v[36:37], v[106:107], s[16:17]
	v_add_f64 v[78:79], v[86:87], v[78:79]
	;; [unrolled: 2-line block ×3, first 2 shown]
	v_add_f64 v[72:73], v[94:95], v[72:73]
	v_add_f64 v[70:71], v[88:89], v[70:71]
	v_mul_f64 v[88:89], v[161:162], s[24:25]
	v_mul_f64 v[94:95], v[165:166], s[30:31]
	v_add_f64 v[159:160], v[249:250], v[36:37]
	v_mul_f64 v[36:37], v[169:170], s[24:25]
	v_mul_f64 v[249:250], v[124:125], s[28:29]
	v_mul_f64 v[124:125], v[124:125], s[16:17]
	v_add_f64 v[80:81], v[159:160], v[80:81]
	v_add_f64 v[36:37], v[36:37], -v[140:141]
	v_add_f64 v[140:141], v[42:43], -v[243:244]
	v_mul_f64 v[42:43], v[98:99], s[16:17]
	v_mul_f64 v[243:244], v[98:99], s[18:19]
	s_waitcnt vmcnt(0)
	v_add_f64 v[211:212], v[211:212], -v[0:1]
	s_clause 0x1
	buffer_load_dword v0, off, s[60:63], 0 offset:588
	buffer_load_dword v1, off, s[60:63], 0 offset:592
	v_add_f64 v[80:81], v[108:109], v[80:81]
	v_mul_f64 v[108:109], v[165:166], s[28:29]
	v_add_f64 v[163:164], v[42:43], -v[241:242]
	v_mul_f64 v[42:43], v[177:178], s[16:17]
	v_mul_f64 v[241:242], v[106:107], s[18:19]
	;; [unrolled: 1-line block ×3, first 2 shown]
	v_add_f64 v[80:81], v[126:127], v[80:81]
	v_add_f64 v[82:83], v[163:164], v[82:83]
	v_add_f64 v[42:43], v[239:240], v[42:43]
	v_mul_f64 v[239:240], v[98:99], s[28:29]
	v_mul_f64 v[98:99], v[98:99], s[8:9]
	v_add_f64 v[80:81], v[136:137], v[80:81]
	v_add_f64 v[82:83], v[140:141], v[82:83]
	;; [unrolled: 1-line block ×6, first 2 shown]
	v_mul_f64 v[104:105], v[153:154], s[6:7]
	v_add_f64 v[82:83], v[118:119], v[82:83]
	v_add_f64 v[82:83], v[40:41], v[82:83]
	;; [unrolled: 1-line block ×3, first 2 shown]
	s_waitcnt vmcnt(0)
	v_add_f64 v[213:214], v[213:214], -v[0:1]
	s_clause 0x1
	buffer_load_dword v0, off, s[60:63], 0 offset:580
	buffer_load_dword v1, off, s[60:63], 0 offset:584
	v_add_f64 v[54:55], v[213:214], v[54:55]
	v_add_f64 v[54:55], v[211:212], v[54:55]
	;; [unrolled: 1-line block ×4, first 2 shown]
	s_waitcnt vmcnt(0)
	v_add_f64 v[215:216], v[0:1], v[215:216]
	s_clause 0x1
	buffer_load_dword v0, off, s[60:63], 0 offset:572
	buffer_load_dword v1, off, s[60:63], 0 offset:576
	s_waitcnt vmcnt(0)
	v_add_f64 v[217:218], v[0:1], v[217:218]
	s_clause 0x1
	buffer_load_dword v0, off, s[60:63], 0 offset:556
	buffer_load_dword v1, off, s[60:63], 0 offset:560
	;; [unrolled: 5-line block ×4, first 2 shown]
	v_add_f64 v[56:57], v[221:222], v[56:57]
	v_add_f64 v[56:57], v[219:220], v[56:57]
	;; [unrolled: 1-line block ×4, first 2 shown]
	s_waitcnt vmcnt(0)
	v_add_f64 v[223:224], v[223:224], -v[0:1]
	s_clause 0x1
	buffer_load_dword v0, off, s[60:63], 0 offset:524
	buffer_load_dword v1, off, s[60:63], 0 offset:528
	s_waitcnt vmcnt(0)
	v_add_f64 v[225:226], v[225:226], -v[0:1]
	s_clause 0x1
	buffer_load_dword v0, off, s[60:63], 0 offset:532
	buffer_load_dword v1, off, s[60:63], 0 offset:536
	v_add_f64 v[58:59], v[225:226], v[58:59]
	s_waitcnt vmcnt(0)
	v_add_f64 v[227:228], v[227:228], -v[0:1]
	s_clause 0x1
	buffer_load_dword v0, off, s[60:63], 0 offset:548
	buffer_load_dword v1, off, s[60:63], 0 offset:552
	v_add_f64 v[58:59], v[227:228], v[58:59]
	;; [unrolled: 6-line block ×3, first 2 shown]
	v_add_f64 v[58:59], v[223:224], v[58:59]
	s_waitcnt vmcnt(0)
	v_add_f64 v[231:232], v[0:1], v[231:232]
	s_clause 0x1
	buffer_load_dword v0, off, s[60:63], 0 offset:500
	buffer_load_dword v1, off, s[60:63], 0 offset:504
	v_add_f64 v[60:61], v[231:232], v[60:61]
	s_waitcnt vmcnt(0)
	v_add_f64 v[233:234], v[0:1], v[233:234]
	s_clause 0x1
	buffer_load_dword v0, off, s[60:63], 0 offset:508
	buffer_load_dword v1, off, s[60:63], 0 offset:512
	;; [unrolled: 6-line block ×4, first 2 shown]
	v_add_f64 v[60:61], v[237:238], v[60:61]
	s_waitcnt vmcnt(0)
	v_add_f64 v[239:240], v[239:240], -v[0:1]
	s_clause 0x1
	buffer_load_dword v0, off, s[60:63], 0 offset:404
	buffer_load_dword v1, off, s[60:63], 0 offset:408
	v_add_f64 v[62:63], v[239:240], v[62:63]
	s_waitcnt vmcnt(0)
	v_add_f64 v[241:242], v[0:1], v[241:242]
	s_clause 0x1
	buffer_load_dword v0, off, s[60:63], 0 offset:380
	buffer_load_dword v1, off, s[60:63], 0 offset:384
	v_add_f64 v[64:65], v[241:242], v[64:65]
	s_waitcnt vmcnt(0)
	v_add_f64 v[243:244], v[243:244], -v[0:1]
	s_clause 0x1
	buffer_load_dword v0, off, s[60:63], 0 offset:40
	buffer_load_dword v1, off, s[60:63], 0 offset:44
	v_add_f64 v[66:67], v[243:244], v[66:67]
	s_waitcnt vmcnt(0)
	v_add_f64 v[106:107], v[0:1], v[106:107]
	s_clause 0x1
	buffer_load_dword v0, off, s[60:63], 0 offset:476
	buffer_load_dword v1, off, s[60:63], 0 offset:480
	v_add_f64 v[68:69], v[106:107], v[68:69]
	v_mul_f64 v[106:107], v[165:166], s[24:25]
	s_waitcnt vmcnt(0)
	v_add_f64 v[245:246], v[245:246], -v[0:1]
	s_clause 0x1
	buffer_load_dword v0, off, s[60:63], 0 offset:24
	buffer_load_dword v1, off, s[60:63], 0 offset:28
	v_add_f64 v[62:63], v[245:246], v[62:63]
	s_waitcnt vmcnt(0)
	v_add_f64 v[98:99], v[98:99], -v[0:1]
	s_clause 0x1
	buffer_load_dword v0, off, s[60:63], 0 offset:388
	buffer_load_dword v1, off, s[60:63], 0 offset:392
	v_add_f64 v[74:75], v[98:99], v[74:75]
	v_mul_f64 v[98:99], v[165:166], s[6:7]
	s_waitcnt vmcnt(0)
	v_add_f64 v[249:250], v[0:1], v[249:250]
	s_clause 0x1
	buffer_load_dword v0, off, s[60:63], 0 offset:372
	buffer_load_dword v1, off, s[60:63], 0 offset:376
	v_add_f64 v[64:65], v[249:250], v[64:65]
	s_waitcnt vmcnt(0)
	v_add_f64 v[251:252], v[251:252], -v[0:1]
	s_clause 0x1
	buffer_load_dword v0, off, s[60:63], 0 offset:88
	buffer_load_dword v1, off, s[60:63], 0 offset:92
	v_add_f64 v[66:67], v[251:252], v[66:67]
	s_waitcnt vmcnt(0)
	v_add_f64 v[124:125], v[0:1], v[124:125]
	s_clause 0x1
	buffer_load_dword v0, off, s[60:63], 0 offset:72
	buffer_load_dword v1, off, s[60:63], 0 offset:76
	v_add_f64 v[68:69], v[124:125], v[68:69]
	s_waitcnt vmcnt(0)
	v_add_f64 v[116:117], v[116:117], -v[0:1]
	s_clause 0x1
	buffer_load_dword v0, off, s[60:63], 0 offset:452
	buffer_load_dword v1, off, s[60:63], 0 offset:456
	v_add_f64 v[74:75], v[116:117], v[74:75]
	v_mul_f64 v[116:117], v[146:147], s[30:31]
	s_waitcnt vmcnt(0)
	v_add_f64 v[28:29], v[28:29], -v[0:1]
	s_clause 0x1
	buffer_load_dword v0, off, s[60:63], 0 offset:364
	buffer_load_dword v1, off, s[60:63], 0 offset:368
	v_add_f64 v[28:29], v[28:29], v[62:63]
	v_mul_f64 v[62:63], v[161:162], s[30:31]
	s_waitcnt vmcnt(0)
	v_add_f64 v[30:31], v[0:1], v[30:31]
	s_clause 0x1
	buffer_load_dword v0, off, s[60:63], 0 offset:348
	buffer_load_dword v1, off, s[60:63], 0 offset:352
	v_add_f64 v[30:31], v[30:31], v[64:65]
	v_mul_f64 v[64:65], v[142:143], s[30:31]
	s_waitcnt vmcnt(0)
	v_add_f64 v[144:145], v[144:145], -v[0:1]
	s_clause 0x1
	buffer_load_dword v0, off, s[60:63], 0 offset:140
	buffer_load_dword v1, off, s[60:63], 0 offset:144
	v_add_f64 v[66:67], v[144:145], v[66:67]
	s_waitcnt vmcnt(0)
	v_add_f64 v[92:93], v[0:1], v[92:93]
	s_clause 0x1
	buffer_load_dword v0, off, s[60:63], 0 offset:56
	buffer_load_dword v1, off, s[60:63], 0 offset:60
	v_add_f64 v[68:69], v[92:93], v[68:69]
	v_mul_f64 v[92:93], v[153:154], s[18:19]
	s_waitcnt vmcnt(0)
	v_add_f64 v[84:85], v[84:85], -v[0:1]
	s_clause 0x1
	buffer_load_dword v0, off, s[60:63], 0 offset:332
	buffer_load_dword v1, off, s[60:63], 0 offset:336
	v_add_f64 v[74:75], v[84:85], v[74:75]
	v_mul_f64 v[84:85], v[165:166], s[18:19]
	s_waitcnt vmcnt(0)
	v_add_f64 v[86:87], v[86:87], -v[0:1]
	s_clause 0x1
	buffer_load_dword v0, off, s[60:63], 0 offset:276
	buffer_load_dword v1, off, s[60:63], 0 offset:280
	v_add_f64 v[28:29], v[86:87], v[28:29]
	v_mul_f64 v[86:87], v[157:158], s[28:29]
	s_waitcnt vmcnt(0)
	v_add_f64 v[62:63], v[0:1], v[62:63]
	s_clause 0x1
	buffer_load_dword v0, off, s[60:63], 0 offset:268
	buffer_load_dword v1, off, s[60:63], 0 offset:272
	v_add_f64 v[30:31], v[62:63], v[30:31]
	v_mul_f64 v[62:63], v[153:154], s[24:25]
	s_waitcnt vmcnt(0)
	v_add_f64 v[64:65], v[64:65], -v[0:1]
	s_clause 0x1
	buffer_load_dword v0, off, s[60:63], 0 offset:180
	buffer_load_dword v1, off, s[60:63], 0 offset:184
	v_add_f64 v[64:65], v[64:65], v[66:67]
	v_mul_f64 v[66:67], v[157:158], s[6:7]
	s_waitcnt vmcnt(0)
	v_add_f64 v[88:89], v[0:1], v[88:89]
	;; [unrolled: 14-line block ×5, first 2 shown]
	s_clause 0x1
	buffer_load_dword v0, off, s[60:63], 0 offset:300
	buffer_load_dword v1, off, s[60:63], 0 offset:304
	v_add_f64 v[60:61], v[98:99], v[60:61]
	v_mul_f64 v[98:99], v[146:147], s[18:19]
	s_waitcnt vmcnt(0)
	v_add_f64 v[104:105], v[104:105], -v[0:1]
	s_clause 0x1
	buffer_load_dword v0, off, s[60:63], 0 offset:244
	buffer_load_dword v1, off, s[60:63], 0 offset:248
	v_add_f64 v[28:29], v[104:105], v[28:29]
	v_mul_f64 v[104:105], v[169:170], s[6:7]
	v_add_f64 v[104:105], v[104:105], -v[2:3]
	s_waitcnt vmcnt(0)
	v_add_f64 v[106:107], v[0:1], v[106:107]
	s_clause 0x1
	buffer_load_dword v0, off, s[60:63], 0 offset:236
	buffer_load_dword v1, off, s[60:63], 0 offset:240
	v_add_f64 v[30:31], v[106:107], v[30:31]
	v_mul_f64 v[106:107], v[146:147], s[16:17]
	s_waitcnt vmcnt(0)
	v_add_f64 v[62:63], v[62:63], -v[0:1]
	s_clause 0x1
	buffer_load_dword v0, off, s[60:63], 0 offset:188
	buffer_load_dword v1, off, s[60:63], 0 offset:192
	v_add_f64 v[62:63], v[62:63], v[64:65]
	v_mul_f64 v[64:65], v[177:178], s[28:29]
	s_waitcnt vmcnt(0)
	v_add_f64 v[108:109], v[0:1], v[108:109]
	s_clause 0x1
	buffer_load_dword v0, off, s[60:63], 0 offset:164
	buffer_load_dword v1, off, s[60:63], 0 offset:168
	v_add_f64 v[68:69], v[108:109], v[68:69]
	v_mul_f64 v[108:109], v[151:152], s[26:27]
	v_fma_f64 v[114:115], v[146:147], s[24:25], v[108:109]
	v_fma_f64 v[108:109], v[146:147], s[24:25], -v[108:109]
	v_add_f64 v[72:73], v[114:115], v[72:73]
	v_add_f64 v[108:109], v[108:109], v[70:71]
	s_waitcnt vmcnt(0)
	v_add_f64 v[88:89], v[88:89], -v[0:1]
	s_clause 0x1
	buffer_load_dword v0, off, s[60:63], 0 offset:444
	buffer_load_dword v1, off, s[60:63], 0 offset:448
	v_add_f64 v[74:75], v[88:89], v[74:75]
	s_waitcnt vmcnt(0)
	v_add_f64 v[66:67], v[0:1], v[66:67]
	s_clause 0x1
	buffer_load_dword v0, off, s[60:63], 0 offset:436
	buffer_load_dword v1, off, s[60:63], 0 offset:440
	v_add_f64 v[52:53], v[66:67], v[52:53]
	v_mul_f64 v[66:67], v[169:170], s[28:29]
	s_waitcnt vmcnt(0)
	v_add_f64 v[84:85], v[84:85], -v[0:1]
	s_clause 0x1
	buffer_load_dword v0, off, s[60:63], 0 offset:356
	buffer_load_dword v1, off, s[60:63], 0 offset:360
	v_add_f64 v[84:85], v[84:85], v[54:55]
	s_waitcnt vmcnt(0)
	v_add_f64 v[86:87], v[0:1], v[86:87]
	s_clause 0x1
	buffer_load_dword v0, off, s[60:63], 0 offset:340
	buffer_load_dword v1, off, s[60:63], 0 offset:344
	v_add_f64 v[56:57], v[86:87], v[56:57]
	v_mul_f64 v[86:87], v[169:170], s[8:9]
	;; [unrolled: 13-line block ×3, first 2 shown]
	s_waitcnt vmcnt(0)
	v_add_f64 v[98:99], v[98:99], -v[0:1]
	s_clause 0x1
	buffer_load_dword v0, off, s[60:63], 0 offset:228
	buffer_load_dword v1, off, s[60:63], 0 offset:232
	v_add_f64 v[28:29], v[98:99], v[28:29]
	v_add_f64 v[98:99], v[46:47], v[50:51]
	;; [unrolled: 1-line block ×6, first 2 shown]
	s_waitcnt vmcnt(0)
	v_add_f64 v[110:111], v[0:1], v[110:111]
	s_clause 0x1
	buffer_load_dword v0, off, s[60:63], 0 offset:220
	buffer_load_dword v1, off, s[60:63], 0 offset:224
	v_add_f64 v[30:31], v[110:111], v[30:31]
	v_mul_f64 v[110:111], v[177:178], s[34:35]
	s_waitcnt vmcnt(0)
	v_add_f64 v[106:107], v[106:107], -v[0:1]
	s_clause 0x1
	buffer_load_dword v0, off, s[60:63], 0 offset:172
	buffer_load_dword v1, off, s[60:63], 0 offset:176
	v_add_f64 v[106:107], v[106:107], v[62:63]
	s_waitcnt vmcnt(0)
	v_add_f64 v[112:113], v[0:1], v[112:113]
	s_clause 0x1
	buffer_load_dword v0, off, s[60:63], 0 offset:156
	buffer_load_dword v1, off, s[60:63], 0 offset:160
	v_add_f64 v[68:69], v[112:113], v[68:69]
	v_mul_f64 v[112:113], v[173:174], s[44:45]
	v_fma_f64 v[118:119], v[169:170], s[18:19], v[112:113]
	v_fma_f64 v[112:113], v[169:170], s[18:19], -v[112:113]
	v_add_f64 v[38:39], v[112:113], v[108:109]
	s_waitcnt vmcnt(0)
	v_add_f64 v[116:117], v[116:117], -v[0:1]
	s_clause 0x1
	buffer_load_dword v0, off, s[60:63], 0 offset:428
	buffer_load_dword v1, off, s[60:63], 0 offset:432
	v_add_f64 v[74:75], v[116:117], v[74:75]
	s_waitcnt vmcnt(0)
	v_add_f64 v[64:65], v[0:1], v[64:65]
	s_clause 0x1
	buffer_load_dword v0, off, s[60:63], 0 offset:420
	buffer_load_dword v1, off, s[60:63], 0 offset:424
	v_add_f64 v[54:55], v[64:65], v[52:53]
	v_add_f64 v[64:65], v[104:105], v[106:107]
	s_waitcnt vmcnt(0)
	v_add_f64 v[88:89], v[66:67], -v[0:1]
	s_clause 0x1
	buffer_load_dword v0, off, s[60:63], 0 offset:324
	buffer_load_dword v1, off, s[60:63], 0 offset:328
	v_mul_f64 v[66:67], v[177:178], s[8:9]
	v_add_f64 v[52:53], v[88:89], v[84:85]
	s_waitcnt vmcnt(0)
	v_add_f64 v[66:67], v[0:1], v[66:67]
	s_clause 0x1
	buffer_load_dword v0, off, s[60:63], 0 offset:308
	buffer_load_dword v1, off, s[60:63], 0 offset:312
	v_add_f64 v[58:59], v[66:67], v[56:57]
	s_waitcnt vmcnt(0)
	v_add_f64 v[86:87], v[86:87], -v[0:1]
	s_clause 0x1
	buffer_load_dword v0, off, s[60:63], 0 offset:260
	buffer_load_dword v1, off, s[60:63], 0 offset:264
	v_add_f64 v[56:57], v[86:87], v[90:91]
	s_waitcnt vmcnt(0)
	v_add_f64 v[92:93], v[0:1], v[92:93]
	s_clause 0x1
	buffer_load_dword v0, off, s[60:63], 0 offset:252
	buffer_load_dword v1, off, s[60:63], 0 offset:256
	v_add_f64 v[62:63], v[92:93], v[60:61]
	s_waitcnt vmcnt(0)
	v_add_f64 v[94:95], v[94:95], -v[0:1]
	s_clause 0x1
	buffer_load_dword v0, off, s[60:63], 0 offset:212
	buffer_load_dword v1, off, s[60:63], 0 offset:216
	v_add_f64 v[60:61], v[94:95], v[28:29]
	s_waitcnt vmcnt(0)
	v_add_f64 v[96:97], v[0:1], v[96:97]
	s_clause 0x1
	buffer_load_dword v0, off, s[60:63], 0 offset:204
	buffer_load_dword v1, off, s[60:63], 0 offset:208
	v_add_f64 v[66:67], v[96:97], v[30:31]
	v_add_f64 v[30:31], v[118:119], v[72:73]
	s_waitcnt vmcnt(0)
	v_add_f64 v[110:111], v[0:1], v[110:111]
	s_clause 0x1
	buffer_load_dword v0, off, s[60:63], 0 offset:196
	buffer_load_dword v1, off, s[60:63], 0 offset:200
	v_add_f64 v[70:71], v[110:111], v[68:69]
	s_waitcnt vmcnt(0)
	v_add_f64 v[120:121], v[120:121], -v[0:1]
	s_clause 0x1
	buffer_load_dword v0, off, s[60:63], 0 offset:104
	buffer_load_dword v1, off, s[60:63], 0 offset:108
	v_add_f64 v[68:69], v[120:121], v[74:75]
	s_waitcnt vmcnt(0)
	v_add_f64 v[26:27], v[0:1], v[26:27]
	s_clause 0x1
	buffer_load_dword v0, off, s[60:63], 0 offset:120
	buffer_load_dword v1, off, s[60:63], 0 offset:124
	s_waitcnt vmcnt(0)
	v_add_f64 v[24:25], v[0:1], v[24:25]
	v_mov_b32_e32 v0, 4
	v_mul_lo_u16 v1, v150, 17
	v_lshlrev_b32_sdwa v0, v0, v1 dst_sel:DWORD dst_unused:UNUSED_PAD src0_sel:DWORD src1_sel:WORD_0
	ds_write_b128 v0, v[24:27]
	ds_write_b128 v0, v[68:71] offset:16
	ds_write_b128 v0, v[64:67] offset:32
	;; [unrolled: 1-line block ×15, first 2 shown]
	s_clause 0x3
	buffer_load_dword v24, off, s[60:63], 0 offset:8
	buffer_load_dword v25, off, s[60:63], 0 offset:12
	;; [unrolled: 1-line block ×4, first 2 shown]
	s_waitcnt vmcnt(0)
	ds_write_b128 v0, v[24:27] offset:256
.LBB0_7:
	s_or_b32 exec_lo, exec_lo, s4
	v_mov_b32_e32 v254, v150
	s_load_dwordx4 s[4:7], s[0:1], 0x0
	s_waitcnt lgkmcnt(0)
	s_waitcnt_vscnt null, 0x0
	s_barrier
	buffer_gl0_inv
	v_and_b32_e32 v0, 0xff, v254
	s_mov_b32 s0, 0x134454ff
	s_mov_b32 s1, 0x3fee6f0e
	;; [unrolled: 1-line block ×4, first 2 shown]
	v_mul_lo_u16 v0, 0xf1, v0
	s_mov_b32 s8, 0x4755a5e
	s_mov_b32 s9, 0x3fe2cf23
	;; [unrolled: 1-line block ×4, first 2 shown]
	v_lshrrev_b16 v32, 12, v0
	s_mov_b32 s10, 0x372fe950
	s_mov_b32 s11, 0x3fd3c6ef
	;; [unrolled: 1-line block ×4, first 2 shown]
	v_mul_lo_u16 v0, v32, 17
	v_sub_nc_u16 v0, v254, v0
	v_and_b32_e32 v33, 0xff, v0
	v_mad_u64_u32 v[34:35], null, 0x90, v33, s[2:3]
	s_clause 0x8
	global_load_dwordx4 v[24:27], v[34:35], off offset:32
	global_load_dwordx4 v[48:51], v[34:35], off offset:64
	global_load_dwordx4 v[28:31], v[34:35], off offset:96
	global_load_dwordx4 v[52:55], v[34:35], off offset:128
	global_load_dwordx4 v[0:3], v[34:35], off
	global_load_dwordx4 v[88:91], v[34:35], off offset:16
	global_load_dwordx4 v[84:87], v[34:35], off offset:48
	;; [unrolled: 1-line block ×4, first 2 shown]
	ds_read_b128 v[34:37], v255 offset:8976
	ds_read_b128 v[38:41], v255 offset:14960
	;; [unrolled: 1-line block ×9, first 2 shown]
	s_waitcnt vmcnt(8) lgkmcnt(8)
	v_mul_f64 v[46:47], v[36:37], v[26:27]
	v_mul_f64 v[104:105], v[34:35], v[26:27]
	s_waitcnt vmcnt(7) lgkmcnt(7)
	v_mul_f64 v[106:107], v[40:41], v[50:51]
	s_waitcnt vmcnt(6) lgkmcnt(6)
	;; [unrolled: 2-line block ×3, first 2 shown]
	v_mul_f64 v[114:115], v[56:57], v[54:55]
	v_mul_f64 v[108:109], v[38:39], v[50:51]
	;; [unrolled: 1-line block ×4, first 2 shown]
	s_waitcnt vmcnt(4) lgkmcnt(4)
	v_mul_f64 v[118:119], v[62:63], v[2:3]
	s_waitcnt vmcnt(1) lgkmcnt(1)
	v_mul_f64 v[130:131], v[94:95], v[78:79]
	v_mul_f64 v[120:121], v[60:61], v[2:3]
	;; [unrolled: 1-line block ×3, first 2 shown]
	s_waitcnt vmcnt(0) lgkmcnt(0)
	v_mul_f64 v[134:135], v[96:97], v[74:75]
	v_mul_f64 v[122:123], v[66:67], v[90:91]
	;; [unrolled: 1-line block ×5, first 2 shown]
	v_fma_f64 v[46:47], v[34:35], v[24:25], -v[46:47]
	buffer_store_dword v24, off, s[60:63], 0 offset:40 ; 4-byte Folded Spill
	buffer_store_dword v25, off, s[60:63], 0 offset:44 ; 4-byte Folded Spill
	buffer_store_dword v26, off, s[60:63], 0 offset:48 ; 4-byte Folded Spill
	buffer_store_dword v27, off, s[60:63], 0 offset:52 ; 4-byte Folded Spill
	v_fma_f64 v[38:39], v[38:39], v[48:49], -v[106:107]
	buffer_store_dword v48, off, s[60:63], 0 offset:72 ; 4-byte Folded Spill
	buffer_store_dword v49, off, s[60:63], 0 offset:76 ; 4-byte Folded Spill
	buffer_store_dword v50, off, s[60:63], 0 offset:80 ; 4-byte Folded Spill
	buffer_store_dword v51, off, s[60:63], 0 offset:84 ; 4-byte Folded Spill
	v_fma_f64 v[42:43], v[42:43], v[28:29], -v[110:111]
	buffer_store_dword v28, off, s[60:63], 0 offset:56 ; 4-byte Folded Spill
	buffer_store_dword v29, off, s[60:63], 0 offset:60 ; 4-byte Folded Spill
	buffer_store_dword v30, off, s[60:63], 0 offset:64 ; 4-byte Folded Spill
	buffer_store_dword v31, off, s[60:63], 0 offset:68 ; 4-byte Folded Spill
	v_fma_f64 v[58:59], v[58:59], v[52:53], v[114:115]
	buffer_store_dword v52, off, s[60:63], 0 offset:88 ; 4-byte Folded Spill
	buffer_store_dword v53, off, s[60:63], 0 offset:92 ; 4-byte Folded Spill
	;; [unrolled: 1-line block ×4, first 2 shown]
	v_fma_f64 v[60:61], v[60:61], v[0:1], -v[118:119]
	v_fma_f64 v[92:93], v[92:93], v[76:77], -v[130:131]
	v_mul_f64 v[106:107], v[98:99], v[74:75]
	v_fma_f64 v[98:99], v[98:99], v[72:73], v[134:135]
	v_fma_f64 v[64:65], v[64:65], v[88:89], -v[122:123]
	v_fma_f64 v[66:67], v[66:67], v[88:89], v[124:125]
	v_fma_f64 v[68:69], v[68:69], v[84:85], -v[126:127]
	v_fma_f64 v[70:71], v[70:71], v[84:85], v[128:129]
	v_add_f64 v[148:149], v[46:47], -v[38:39]
	v_add_f64 v[152:153], v[38:39], -v[46:47]
	;; [unrolled: 1-line block ×3, first 2 shown]
	v_add_f64 v[146:147], v[66:67], v[98:99]
	v_add_f64 v[118:119], v[66:67], -v[98:99]
	v_add_f64 v[130:131], v[64:65], -v[68:69]
	;; [unrolled: 1-line block ×5, first 2 shown]
	v_fma_f64 v[104:105], v[36:37], v[24:25], v[104:105]
	ds_read_b128 v[34:37], v255
	buffer_store_dword v76, off, s[60:63], 0 offset:120 ; 4-byte Folded Spill
	buffer_store_dword v77, off, s[60:63], 0 offset:124 ; 4-byte Folded Spill
	;; [unrolled: 1-line block ×12, first 2 shown]
	v_fma_f64 v[40:41], v[40:41], v[48:49], v[108:109]
	v_fma_f64 v[44:45], v[44:45], v[28:29], v[112:113]
	v_fma_f64 v[56:57], v[56:57], v[52:53], -v[116:117]
	v_add_f64 v[108:109], v[38:39], v[42:43]
	v_add_f64 v[116:117], v[68:69], v[92:93]
	s_waitcnt lgkmcnt(0)
	s_waitcnt_vscnt null, 0x0
	s_barrier
	buffer_gl0_inv
	v_add_f64 v[140:141], v[36:37], v[66:67]
	v_add_f64 v[112:113], v[104:105], v[58:59]
	v_add_f64 v[122:123], v[104:105], -v[58:59]
	v_add_f64 v[66:67], v[70:71], -v[66:67]
	;; [unrolled: 1-line block ×3, first 2 shown]
	v_add_f64 v[110:111], v[40:41], v[44:45]
	v_add_f64 v[114:115], v[46:47], v[56:57]
	v_add_f64 v[124:125], v[40:41], -v[44:45]
	v_add_f64 v[126:127], v[46:47], -v[56:57]
	v_fma_f64 v[108:109], v[108:109], -0.5, v[60:61]
	v_add_f64 v[150:151], v[56:57], -v[42:43]
	v_add_f64 v[154:155], v[42:43], -v[56:57]
	;; [unrolled: 1-line block ×5, first 2 shown]
	v_add_f64 v[46:47], v[60:61], v[46:47]
	v_fma_f64 v[114:115], v[114:115], -0.5, v[60:61]
	v_fma_f64 v[170:171], v[122:123], s[16:17], v[108:109]
	v_fma_f64 v[108:109], v[122:123], s[0:1], v[108:109]
	v_add_f64 v[38:39], v[46:47], v[38:39]
	v_fma_f64 v[168:169], v[124:125], s[0:1], v[114:115]
	v_fma_f64 v[114:115], v[124:125], s[16:17], v[114:115]
	;; [unrolled: 1-line block ×3, first 2 shown]
	v_add_f64 v[38:39], v[38:39], v[42:43]
	v_fma_f64 v[114:115], v[122:123], s[8:9], v[114:115]
	v_add_f64 v[38:39], v[38:39], v[56:57]
	v_fma_f64 v[94:95], v[94:95], v[76:77], v[132:133]
	v_fma_f64 v[62:63], v[62:63], v[0:1], v[120:121]
	v_fma_f64 v[96:97], v[96:97], v[72:73], -v[106:107]
	v_add_f64 v[106:107], v[34:35], v[64:65]
	v_mov_b32_e32 v0, 0xaa
	v_mul_u32_u24_sdwa v0, v32, v0 dst_sel:DWORD dst_unused:UNUSED_PAD src0_sel:WORD_0 src1_sel:DWORD
	v_add_lshl_u32 v245, v0, v33, 4
	v_add_f64 v[142:143], v[70:71], v[94:95]
	v_fma_f64 v[110:111], v[110:111], -0.5, v[62:63]
	v_fma_f64 v[112:113], v[112:113], -0.5, v[62:63]
	v_add_f64 v[134:135], v[64:65], v[96:97]
	v_add_f64 v[120:121], v[70:71], -v[94:95]
	v_add_f64 v[132:133], v[96:97], -v[92:93]
	;; [unrolled: 1-line block ×4, first 2 shown]
	v_add_f64 v[60:61], v[62:63], v[104:105]
	v_fma_f64 v[62:63], v[116:117], -0.5, v[34:35]
	v_add_f64 v[116:117], v[148:149], v[150:151]
	v_add_f64 v[174:175], v[98:99], -v[94:95]
	v_add_f64 v[176:177], v[94:95], -v[98:99]
	v_add_f64 v[68:69], v[106:107], v[68:69]
	v_add_f64 v[70:71], v[140:141], v[70:71]
	v_fma_f64 v[104:105], v[142:143], -0.5, v[36:37]
	v_fma_f64 v[164:165], v[126:127], s[16:17], v[110:111]
	v_fma_f64 v[166:167], v[128:129], s[0:1], v[112:113]
	;; [unrolled: 1-line block ×4, first 2 shown]
	v_fma_f64 v[34:35], v[134:135], -0.5, v[34:35]
	v_fma_f64 v[36:37], v[146:147], -0.5, v[36:37]
	v_add_f64 v[134:135], v[152:153], v[154:155]
	v_add_f64 v[142:143], v[156:157], v[158:159]
	;; [unrolled: 1-line block ×3, first 2 shown]
	v_fma_f64 v[152:153], v[122:123], s[18:19], v[168:169]
	v_fma_f64 v[154:155], v[124:125], s[18:19], v[170:171]
	v_add_f64 v[106:107], v[130:131], v[132:133]
	v_add_f64 v[122:123], v[136:137], v[138:139]
	;; [unrolled: 1-line block ×3, first 2 shown]
	v_fma_f64 v[46:47], v[118:119], s[0:1], v[62:63]
	v_fma_f64 v[60:61], v[118:119], s[16:17], v[62:63]
	;; [unrolled: 1-line block ×3, first 2 shown]
	v_add_f64 v[66:67], v[66:67], v[176:177]
	v_add_f64 v[68:69], v[68:69], v[92:93]
	;; [unrolled: 1-line block ×3, first 2 shown]
	v_fma_f64 v[124:125], v[64:65], s[16:17], v[104:105]
	v_fma_f64 v[148:149], v[128:129], s[18:19], v[164:165]
	;; [unrolled: 1-line block ×13, first 2 shown]
	v_add_f64 v[116:117], v[172:173], v[174:175]
	v_add_f64 v[40:41], v[40:41], v[44:45]
	v_fma_f64 v[42:43], v[120:121], s[8:9], v[46:47]
	v_fma_f64 v[44:45], v[120:121], s[18:19], v[60:61]
	v_mul_f64 v[120:121], v[108:109], s[18:19]
	v_add_f64 v[68:69], v[68:69], v[96:97]
	v_add_f64 v[70:71], v[70:71], v[98:99]
	v_fma_f64 v[60:61], v[144:145], s[18:19], v[124:125]
	v_fma_f64 v[128:129], v[142:143], s[10:11], v[148:149]
	;; [unrolled: 1-line block ×10, first 2 shown]
	v_mul_f64 v[104:105], v[132:133], s[10:11]
	v_mul_f64 v[118:119], v[136:137], s[20:21]
	;; [unrolled: 1-line block ×3, first 2 shown]
	v_add_f64 v[40:41], v[40:41], v[58:59]
	v_fma_f64 v[96:97], v[106:107], s[10:11], v[42:43]
	v_fma_f64 v[98:99], v[106:107], s[10:11], v[44:45]
	v_mul_f64 v[64:65], v[128:129], s[8:9]
	v_mul_f64 v[94:95], v[130:131], s[0:1]
	;; [unrolled: 1-line block ×4, first 2 shown]
	v_fma_f64 v[138:139], v[122:123], s[10:11], v[46:47]
	v_fma_f64 v[34:35], v[122:123], s[10:11], v[34:35]
	;; [unrolled: 1-line block ×6, first 2 shown]
	v_fma_f64 v[110:111], v[110:111], s[8:9], -v[118:119]
	v_fma_f64 v[118:119], v[130:131], s[10:11], v[124:125]
	v_add_f64 v[92:93], v[68:69], -v[38:39]
	v_add_f64 v[106:107], v[70:71], v[40:41]
	v_fma_f64 v[64:65], v[108:109], s[20:21], v[64:65]
	v_fma_f64 v[66:67], v[114:115], s[10:11], v[94:95]
	v_fma_f64 v[108:109], v[112:113], s[0:1], -v[104:105]
	v_fma_f64 v[114:115], v[128:129], s[20:21], v[120:121]
	v_fma_f64 v[120:121], v[132:133], s[16:17], -v[126:127]
	v_fma_f64 v[124:125], v[136:137], s[18:19], -v[134:135]
	v_add_f64 v[104:105], v[68:69], v[38:39]
	v_add_f64 v[94:95], v[70:71], -v[40:41]
	v_cmp_gt_u16_e64 s0, 0xaa, v254
	v_add_f64 v[60:61], v[98:99], v[110:111]
	v_add_f64 v[46:47], v[142:143], v[118:119]
	;; [unrolled: 1-line block ×8, first 2 shown]
	v_add_f64 v[96:97], v[96:97], -v[64:65]
	v_add_f64 v[112:113], v[138:139], -v[66:67]
	;; [unrolled: 1-line block ×8, first 2 shown]
	ds_write_b128 v245, v[104:107]
	ds_write_b128 v245, v[92:95] offset:1360
	ds_write_b128 v245, v[40:43] offset:272
	;; [unrolled: 1-line block ×9, first 2 shown]
	s_waitcnt lgkmcnt(0)
	s_barrier
	buffer_gl0_inv
	s_and_saveexec_b32 s1, s0
	s_cbranch_execz .LBB0_9
; %bb.8:
	ds_read_b128 v[104:107], v255
	ds_read_b128 v[40:43], v255 offset:2720
	ds_read_b128 v[44:47], v255 offset:5440
	;; [unrolled: 1-line block ×10, first 2 shown]
.LBB0_9:
	s_or_b32 exec_lo, exec_lo, s1
	v_add_nc_u32_e32 v0, 0xffffff56, v254
	s_mov_b32 s28, 0xf8bb580b
	s_mov_b32 s8, 0x43842ef
	s_mov_b32 s20, 0xbb3a28a1
	s_mov_b32 s24, 0xfd768dbf
	v_cndmask_b32_e64 v0, v0, v254, s0
	s_mov_b32 s29, 0xbfe14ced
	s_mov_b32 s11, 0xbfed1bb4
	;; [unrolled: 1-line block ×4, first 2 shown]
	v_mul_hi_i32_i24_e32 v1, 0xa0, v0
	v_mul_i32_i24_e32 v0, 0xa0, v0
	s_mov_b32 s21, 0xbfe82f19
	s_mov_b32 s25, 0xbfd207e7
	s_mov_b32 s18, 0x8764f0ba
	s_mov_b32 s16, 0xd9c712b6
	v_add_co_u32 v0, s1, s2, v0
	v_add_co_ci_u32_e64 v1, s1, s3, v1, s1
	s_mov_b32 s2, 0x640f44db
	v_add_co_u32 v64, s1, 0x990, v0
	v_add_co_ci_u32_e64 v65, s1, 0, v1, s1
	v_add_co_u32 v144, s1, 0x800, v0
	v_add_co_ci_u32_e64 v145, s1, 0, v1, s1
	s_mov_b32 s22, 0x7f775887
	s_clause 0x3
	global_load_dwordx4 v[32:35], v[144:145], off offset:400
	global_load_dwordx4 v[209:212], v[64:65], off offset:48
	;; [unrolled: 1-line block ×4, first 2 shown]
	s_mov_b32 s26, 0x9bcd5057
	s_mov_b32 s19, 0x3feaeb8c
	s_mov_b32 s17, 0x3fda9628
	s_mov_b32 s3, 0xbfc2375f
	s_mov_b32 s23, 0xbfe4f49e
	s_mov_b32 s27, 0xbfeeb42a
	s_mov_b32 s37, 0x3fd207e7
	s_mov_b32 s36, s24
	s_mov_b32 s35, 0x3fefac9e
	s_mov_b32 s34, s8
	s_mov_b32 s31, 0x3fe14ced
	s_mov_b32 s30, s28
	s_waitcnt vmcnt(3) lgkmcnt(9)
	v_mul_f64 v[120:121], v[42:43], v[34:35]
	v_fma_f64 v[146:147], v[40:41], v[32:33], -v[120:121]
	v_mul_f64 v[40:41], v[40:41], v[34:35]
	v_fma_f64 v[148:149], v[42:43], v[32:33], v[40:41]
	s_waitcnt vmcnt(0) lgkmcnt(8)
	v_mul_f64 v[40:41], v[46:47], v[250:251]
	v_fma_f64 v[142:143], v[44:45], v[248:249], -v[40:41]
	v_mul_f64 v[40:41], v[44:45], v[250:251]
	v_fma_f64 v[140:141], v[46:47], v[248:249], v[40:41]
	s_waitcnt lgkmcnt(7)
	v_mul_f64 v[40:41], v[58:59], v[207:208]
	v_fma_f64 v[136:137], v[56:57], v[205:206], -v[40:41]
	v_mul_f64 v[40:41], v[56:57], v[207:208]
	v_fma_f64 v[134:135], v[58:59], v[205:206], v[40:41]
	s_waitcnt lgkmcnt(6)
	v_mul_f64 v[40:41], v[62:63], v[211:212]
	v_fma_f64 v[130:131], v[60:61], v[209:210], -v[40:41]
	v_mul_f64 v[40:41], v[60:61], v[211:212]
	v_add_co_u32 v60, s1, 0x9d0, v0
	v_add_co_ci_u32_e64 v61, s1, 0, v1, s1
	s_clause 0x3
	global_load_dwordx4 v[231:234], v[144:145], off offset:464
	global_load_dwordx4 v[213:216], v[60:61], off offset:48
	;; [unrolled: 1-line block ×4, first 2 shown]
	v_fma_f64 v[128:129], v[62:63], v[209:210], v[40:41]
	s_waitcnt vmcnt(3) lgkmcnt(5)
	v_mul_f64 v[120:121], v[94:95], v[233:234]
	v_fma_f64 v[124:125], v[92:93], v[231:232], -v[120:121]
	v_mul_f64 v[92:93], v[92:93], v[233:234]
	v_fma_f64 v[120:121], v[94:95], v[231:232], v[92:93]
	s_waitcnt vmcnt(0) lgkmcnt(4)
	v_mul_f64 v[92:93], v[98:99], v[243:244]
	v_fma_f64 v[126:127], v[96:97], v[241:242], -v[92:93]
	v_mul_f64 v[92:93], v[96:97], v[243:244]
	v_add_co_u32 v96, s1, 0xa10, v0
	v_add_co_ci_u32_e64 v97, s1, 0, v1, s1
	s_clause 0x1
	global_load_dwordx4 v[36:39], v[144:145], off offset:528
	global_load_dwordx4 v[40:43], v[96:97], off offset:16
	v_fma_f64 v[122:123], v[98:99], v[241:242], v[92:93]
	s_waitcnt lgkmcnt(3)
	v_mul_f64 v[92:93], v[114:115], v[227:228]
	v_fma_f64 v[132:133], v[112:113], v[225:226], -v[92:93]
	v_mul_f64 v[92:93], v[112:113], v[227:228]
	v_fma_f64 v[112:113], v[114:115], v[225:226], v[92:93]
	s_waitcnt lgkmcnt(2)
	v_mul_f64 v[92:93], v[118:119], v[215:216]
	v_fma_f64 v[138:139], v[116:117], v[213:214], -v[92:93]
	v_mul_f64 v[92:93], v[116:117], v[215:216]
	v_fma_f64 v[114:115], v[118:119], v[213:214], v[92:93]
	s_waitcnt vmcnt(1) lgkmcnt(1)
	v_mul_f64 v[116:117], v[110:111], v[38:39]
	v_fma_f64 v[116:117], v[108:109], v[36:37], -v[116:117]
	v_mul_f64 v[108:109], v[108:109], v[38:39]
	v_fma_f64 v[108:109], v[110:111], v[36:37], v[108:109]
	s_waitcnt vmcnt(0) lgkmcnt(0)
	v_mul_f64 v[110:111], v[102:103], v[42:43]
	v_fma_f64 v[110:111], v[100:101], v[40:41], -v[110:111]
	v_mul_f64 v[100:101], v[100:101], v[42:43]
	v_add_f64 v[144:145], v[146:147], v[110:111]
	v_fma_f64 v[118:119], v[102:103], v[40:41], v[100:101]
	v_add_f64 v[102:103], v[106:107], v[148:149]
	v_add_f64 v[100:101], v[104:105], v[146:147]
	;; [unrolled: 1-line block ×20, first 2 shown]
	v_add_f64 v[118:119], v[148:149], -v[118:119]
	v_add_f64 v[100:101], v[100:101], v[110:111]
	v_add_f64 v[110:111], v[146:147], -v[110:111]
	v_mul_f64 v[146:147], v[118:119], s[28:29]
	v_mul_f64 v[156:157], v[118:119], s[10:11]
	;; [unrolled: 1-line block ×10, first 2 shown]
	v_fma_f64 v[148:149], v[144:145], s[18:19], -v[146:147]
	v_fma_f64 v[146:147], v[144:145], s[18:19], v[146:147]
	v_fma_f64 v[158:159], v[144:145], s[16:17], -v[156:157]
	v_fma_f64 v[156:157], v[144:145], s[16:17], v[156:157]
	;; [unrolled: 2-line block ×5, first 2 shown]
	v_fma_f64 v[154:155], v[150:151], s[18:19], v[152:153]
	v_fma_f64 v[152:153], v[150:151], s[18:19], -v[152:153]
	v_fma_f64 v[162:163], v[150:151], s[16:17], v[160:161]
	v_fma_f64 v[160:161], v[150:151], s[16:17], -v[160:161]
	;; [unrolled: 2-line block ×5, first 2 shown]
	v_add_f64 v[148:149], v[104:105], v[148:149]
	v_add_f64 v[146:147], v[104:105], v[146:147]
	;; [unrolled: 1-line block ×11, first 2 shown]
	v_add_f64 v[108:109], v[140:141], -v[108:109]
	v_add_f64 v[154:155], v[106:107], v[154:155]
	v_add_f64 v[152:153], v[106:107], v[152:153]
	;; [unrolled: 1-line block ×11, first 2 shown]
	v_add_f64 v[116:117], v[142:143], -v[116:117]
	v_mul_f64 v[140:141], v[108:109], s[10:11]
	v_mul_f64 v[144:145], v[116:117], s[10:11]
	s_mov_b32 s11, 0x3fed1bb4
	v_fma_f64 v[142:143], v[110:111], s[16:17], -v[140:141]
	v_fma_f64 v[140:141], v[110:111], s[16:17], v[140:141]
	v_add_f64 v[142:143], v[142:143], v[148:149]
	v_add_f64 v[140:141], v[140:141], v[146:147]
	v_mul_f64 v[146:147], v[108:109], s[20:21]
	v_fma_f64 v[148:149], v[118:119], s[16:17], v[144:145]
	v_fma_f64 v[144:145], v[118:119], s[16:17], -v[144:145]
	v_fma_f64 v[150:151], v[110:111], s[22:23], -v[146:147]
	v_fma_f64 v[146:147], v[110:111], s[22:23], v[146:147]
	v_add_f64 v[144:145], v[144:145], v[152:153]
	v_mul_f64 v[152:153], v[116:117], s[20:21]
	v_add_f64 v[148:149], v[148:149], v[154:155]
	v_add_f64 v[150:151], v[150:151], v[158:159]
	;; [unrolled: 1-line block ×3, first 2 shown]
	v_mul_f64 v[156:157], v[108:109], s[36:37]
	v_fma_f64 v[154:155], v[118:119], s[22:23], v[152:153]
	v_fma_f64 v[152:153], v[118:119], s[22:23], -v[152:153]
	v_fma_f64 v[158:159], v[110:111], s[26:27], -v[156:157]
	v_fma_f64 v[156:157], v[110:111], s[26:27], v[156:157]
	v_add_f64 v[152:153], v[152:153], v[160:161]
	v_mul_f64 v[160:161], v[116:117], s[36:37]
	v_add_f64 v[154:155], v[154:155], v[162:163]
	v_add_f64 v[158:159], v[158:159], v[166:167]
	;; [unrolled: 1-line block ×3, first 2 shown]
	v_mul_f64 v[164:165], v[108:109], s[34:35]
	v_fma_f64 v[162:163], v[118:119], s[26:27], v[160:161]
	v_fma_f64 v[160:161], v[118:119], s[26:27], -v[160:161]
	v_mul_f64 v[108:109], v[108:109], s[30:31]
	v_fma_f64 v[166:167], v[110:111], s[2:3], -v[164:165]
	v_fma_f64 v[164:165], v[110:111], s[2:3], v[164:165]
	v_add_f64 v[160:161], v[160:161], v[168:169]
	v_mul_f64 v[168:169], v[116:117], s[34:35]
	v_mul_f64 v[116:117], v[116:117], s[30:31]
	v_add_f64 v[162:163], v[162:163], v[170:171]
	v_add_f64 v[166:167], v[166:167], v[174:175]
	v_add_f64 v[164:165], v[164:165], v[172:173]
	v_fma_f64 v[172:173], v[110:111], s[18:19], -v[108:109]
	v_fma_f64 v[108:109], v[110:111], s[18:19], v[108:109]
	v_add_f64 v[110:111], v[134:135], v[114:115]
	v_add_f64 v[114:115], v[134:135], -v[114:115]
	v_fma_f64 v[170:171], v[118:119], s[2:3], v[168:169]
	v_fma_f64 v[168:169], v[118:119], s[2:3], -v[168:169]
	v_fma_f64 v[174:175], v[118:119], s[18:19], v[116:117]
	v_add_f64 v[172:173], v[172:173], v[180:181]
	v_add_f64 v[104:105], v[108:109], v[104:105]
	v_fma_f64 v[108:109], v[118:119], s[18:19], -v[116:117]
	v_add_f64 v[116:117], v[136:137], -v[138:139]
	v_mul_f64 v[118:119], v[114:115], s[8:9]
	v_add_f64 v[168:169], v[168:169], v[176:177]
	v_add_f64 v[170:171], v[170:171], v[178:179]
	;; [unrolled: 1-line block ×5, first 2 shown]
	v_mul_f64 v[136:137], v[116:117], s[8:9]
	v_fma_f64 v[134:135], v[108:109], s[2:3], -v[118:119]
	v_fma_f64 v[118:119], v[108:109], s[2:3], v[118:119]
	v_fma_f64 v[138:139], v[110:111], s[2:3], v[136:137]
	v_fma_f64 v[136:137], v[110:111], s[2:3], -v[136:137]
	v_add_f64 v[134:135], v[134:135], v[142:143]
	v_add_f64 v[118:119], v[118:119], v[140:141]
	v_mul_f64 v[140:141], v[114:115], s[36:37]
	v_add_f64 v[136:137], v[136:137], v[144:145]
	v_mul_f64 v[144:145], v[116:117], s[36:37]
	v_add_f64 v[138:139], v[138:139], v[148:149]
	v_fma_f64 v[142:143], v[108:109], s[26:27], -v[140:141]
	v_fma_f64 v[140:141], v[108:109], s[26:27], v[140:141]
	v_fma_f64 v[148:149], v[110:111], s[26:27], v[144:145]
	v_fma_f64 v[144:145], v[110:111], s[26:27], -v[144:145]
	v_add_f64 v[142:143], v[142:143], v[150:151]
	v_add_f64 v[140:141], v[140:141], v[146:147]
	v_mul_f64 v[146:147], v[114:115], s[10:11]
	v_add_f64 v[144:145], v[144:145], v[152:153]
	v_mul_f64 v[152:153], v[116:117], s[10:11]
	v_add_f64 v[148:149], v[148:149], v[154:155]
	v_fma_f64 v[150:151], v[108:109], s[16:17], -v[146:147]
	v_fma_f64 v[146:147], v[108:109], s[16:17], v[146:147]
	v_fma_f64 v[154:155], v[110:111], s[16:17], v[152:153]
	v_fma_f64 v[152:153], v[110:111], s[16:17], -v[152:153]
	v_add_f64 v[150:151], v[150:151], v[158:159]
	v_add_f64 v[146:147], v[146:147], v[156:157]
	v_mul_f64 v[156:157], v[114:115], s[28:29]
	v_add_f64 v[152:153], v[152:153], v[160:161]
	v_mul_f64 v[160:161], v[116:117], s[28:29]
	v_mul_f64 v[114:115], v[114:115], s[20:21]
	v_add_f64 v[154:155], v[154:155], v[162:163]
	v_mul_f64 v[116:117], v[116:117], s[20:21]
	v_fma_f64 v[158:159], v[108:109], s[18:19], -v[156:157]
	v_fma_f64 v[156:157], v[108:109], s[18:19], v[156:157]
	v_fma_f64 v[162:163], v[110:111], s[18:19], v[160:161]
	v_add_f64 v[158:159], v[158:159], v[166:167]
	v_add_f64 v[164:165], v[156:157], v[164:165]
	v_fma_f64 v[156:157], v[110:111], s[18:19], -v[160:161]
	v_add_f64 v[162:163], v[162:163], v[170:171]
	v_add_f64 v[160:161], v[156:157], v[168:169]
	v_fma_f64 v[156:157], v[108:109], s[22:23], -v[114:115]
	v_fma_f64 v[108:109], v[108:109], s[22:23], v[114:115]
	v_add_f64 v[114:115], v[130:131], -v[132:133]
	v_add_f64 v[166:167], v[156:157], v[172:173]
	v_fma_f64 v[156:157], v[110:111], s[22:23], v[116:117]
	v_add_f64 v[104:105], v[108:109], v[104:105]
	v_fma_f64 v[108:109], v[110:111], s[22:23], -v[116:117]
	v_add_f64 v[110:111], v[128:129], v[112:113]
	v_add_f64 v[112:113], v[128:129], -v[112:113]
	v_add_f64 v[168:169], v[156:157], v[174:175]
	v_add_f64 v[106:107], v[108:109], v[106:107]
	;; [unrolled: 1-line block ×3, first 2 shown]
	v_mul_f64 v[116:117], v[112:113], s[20:21]
	v_fma_f64 v[128:129], v[108:109], s[22:23], -v[116:117]
	v_fma_f64 v[116:117], v[108:109], s[22:23], v[116:117]
	v_add_f64 v[132:133], v[128:129], v[134:135]
	v_mul_f64 v[128:129], v[114:115], s[20:21]
	v_add_f64 v[116:117], v[116:117], v[118:119]
	v_fma_f64 v[130:131], v[110:111], s[22:23], v[128:129]
	v_fma_f64 v[118:119], v[110:111], s[22:23], -v[128:129]
	v_mul_f64 v[128:129], v[112:113], s[34:35]
	v_add_f64 v[134:135], v[130:131], v[138:139]
	v_add_f64 v[118:119], v[118:119], v[136:137]
	v_fma_f64 v[130:131], v[108:109], s[2:3], -v[128:129]
	v_fma_f64 v[128:129], v[108:109], s[2:3], v[128:129]
	v_mul_f64 v[138:139], v[114:115], s[28:29]
	v_add_f64 v[170:171], v[130:131], v[142:143]
	v_mul_f64 v[130:131], v[114:115], s[34:35]
	v_add_f64 v[174:175], v[128:129], v[140:141]
	v_fma_f64 v[136:137], v[110:111], s[2:3], v[130:131]
	v_fma_f64 v[128:129], v[110:111], s[2:3], -v[130:131]
	v_fma_f64 v[130:131], v[110:111], s[18:19], v[138:139]
	v_add_f64 v[172:173], v[136:137], v[148:149]
	v_mul_f64 v[136:137], v[112:113], s[28:29]
	v_add_f64 v[176:177], v[128:129], v[144:145]
	v_add_f64 v[130:131], v[130:131], v[154:155]
	;; [unrolled: 1-line block ×3, first 2 shown]
	v_add_f64 v[148:149], v[124:125], -v[126:127]
	v_fma_f64 v[128:129], v[108:109], s[18:19], -v[136:137]
	v_fma_f64 v[136:137], v[108:109], s[18:19], v[136:137]
	v_add_f64 v[128:129], v[128:129], v[150:151]
	v_add_f64 v[150:151], v[136:137], v[146:147]
	v_fma_f64 v[136:137], v[110:111], s[18:19], -v[138:139]
	v_add_f64 v[146:147], v[124:125], v[126:127]
	v_add_f64 v[152:153], v[136:137], v[152:153]
	v_mul_f64 v[136:137], v[112:113], s[24:25]
	v_mul_f64 v[112:113], v[112:113], s[10:11]
	v_fma_f64 v[138:139], v[108:109], s[26:27], -v[136:137]
	v_fma_f64 v[136:137], v[108:109], s[26:27], v[136:137]
	v_add_f64 v[154:155], v[138:139], v[158:159]
	v_mul_f64 v[138:139], v[114:115], s[24:25]
	v_add_f64 v[158:159], v[136:137], v[164:165]
	v_mul_f64 v[114:115], v[114:115], s[10:11]
	v_fma_f64 v[136:137], v[110:111], s[26:27], -v[138:139]
	v_fma_f64 v[140:141], v[110:111], s[26:27], v[138:139]
	v_fma_f64 v[138:139], v[110:111], s[16:17], v[114:115]
	v_add_f64 v[160:161], v[136:137], v[160:161]
	v_fma_f64 v[136:137], v[108:109], s[16:17], -v[112:113]
	v_fma_f64 v[108:109], v[108:109], s[16:17], v[112:113]
	v_add_f64 v[156:157], v[140:141], v[162:163]
	v_add_f64 v[162:163], v[120:121], -v[122:123]
	v_add_f64 v[138:139], v[138:139], v[168:169]
	v_add_f64 v[136:137], v[136:137], v[166:167]
	;; [unrolled: 1-line block ×3, first 2 shown]
	v_fma_f64 v[104:105], v[110:111], s[16:17], -v[114:115]
	v_mul_f64 v[120:121], v[162:163], s[20:21]
	v_mul_f64 v[112:113], v[162:163], s[30:31]
	v_add_f64 v[142:143], v[104:105], v[106:107]
	v_mul_f64 v[104:105], v[162:163], s[24:25]
	v_fma_f64 v[122:123], v[146:147], s[22:23], -v[120:121]
	v_fma_f64 v[120:121], v[146:147], s[22:23], v[120:121]
	v_fma_f64 v[114:115], v[146:147], s[18:19], -v[112:113]
	v_fma_f64 v[112:113], v[146:147], s[18:19], v[112:113]
	;; [unrolled: 2-line block ×3, first 2 shown]
	v_add_f64 v[120:121], v[120:121], v[150:151]
	v_mul_f64 v[150:151], v[162:163], s[8:9]
	v_add_f64 v[112:113], v[112:113], v[174:175]
	v_add_f64 v[108:109], v[106:107], v[132:133]
	v_mul_f64 v[106:107], v[148:149], s[24:25]
	v_add_f64 v[132:133], v[122:123], v[128:129]
	v_mul_f64 v[122:123], v[148:149], s[20:21]
	v_add_f64 v[104:105], v[104:105], v[116:117]
	v_add_f64 v[116:117], v[114:115], v[170:171]
	v_mul_f64 v[114:115], v[148:149], s[30:31]
	v_fma_f64 v[110:111], v[144:145], s[26:27], v[106:107]
	v_fma_f64 v[106:107], v[144:145], s[26:27], -v[106:107]
	v_fma_f64 v[124:125], v[144:145], s[22:23], v[122:123]
	v_fma_f64 v[122:123], v[144:145], s[22:23], -v[122:123]
	v_add_f64 v[110:111], v[110:111], v[134:135]
	v_add_f64 v[106:107], v[106:107], v[118:119]
	;; [unrolled: 1-line block ×3, first 2 shown]
	v_mul_f64 v[124:125], v[162:163], s[10:11]
	v_add_f64 v[122:123], v[122:123], v[152:153]
	v_fma_f64 v[152:153], v[146:147], s[2:3], -v[150:151]
	v_fma_f64 v[118:119], v[144:145], s[18:19], v[114:115]
	v_fma_f64 v[114:115], v[144:145], s[18:19], -v[114:115]
	v_fma_f64 v[126:127], v[146:147], s[16:17], -v[124:125]
	v_fma_f64 v[124:125], v[146:147], s[16:17], v[124:125]
	v_add_f64 v[136:137], v[152:153], v[136:137]
	v_fma_f64 v[146:147], v[146:147], s[2:3], v[150:151]
	v_add_f64 v[118:119], v[118:119], v[172:173]
	v_add_f64 v[114:115], v[114:115], v[176:177]
	;; [unrolled: 1-line block ×3, first 2 shown]
	v_mul_f64 v[126:127], v[148:149], s[10:11]
	v_mul_f64 v[148:149], v[148:149], s[8:9]
	v_add_f64 v[124:125], v[124:125], v[158:159]
	v_add_f64 v[140:141], v[146:147], v[140:141]
	v_fma_f64 v[130:131], v[144:145], s[16:17], v[126:127]
	v_fma_f64 v[126:127], v[144:145], s[16:17], -v[126:127]
	v_fma_f64 v[152:153], v[144:145], s[2:3], v[148:149]
	v_fma_f64 v[144:145], v[144:145], s[2:3], -v[148:149]
	v_add_f64 v[130:131], v[130:131], v[156:157]
	v_add_f64 v[126:127], v[126:127], v[160:161]
	;; [unrolled: 1-line block ×4, first 2 shown]
	s_mov_b32 s1, exec_lo
	s_clause 0x3
	buffer_load_dword v0, off, s[60:63], 0 offset:8
	buffer_load_dword v1, off, s[60:63], 0 offset:12
	;; [unrolled: 1-line block ×4, first 2 shown]
	s_and_b32 s2, s1, s0
	s_mov_b32 exec_lo, s2
	s_cbranch_execz .LBB0_11
; %bb.10:
	ds_write_b128 v255, v[100:103]
	ds_write_b128 v255, v[108:111] offset:2720
	ds_write_b128 v255, v[116:119] offset:5440
	;; [unrolled: 1-line block ×10, first 2 shown]
.LBB0_11:
	s_or_b32 exec_lo, exec_lo, s1
	s_waitcnt vmcnt(0) lgkmcnt(0)
	s_barrier
	buffer_gl0_inv
	s_and_saveexec_b32 s2, vcc_lo
	s_cbranch_execz .LBB0_13
; %bb.12:
	v_add_co_u32 v145, s1, s12, v255
	v_add_co_ci_u32_e64 v144, null, s13, 0, s1
	ds_read_b128 v[146:149], v255
	v_add_co_u32 v158, s1, 0x74e0, v145
	v_add_co_ci_u32_e64 v159, s1, 0, v144, s1
	v_add_co_u32 v150, s1, 0x7000, v145
	v_add_co_ci_u32_e64 v151, s1, 0, v144, s1
	global_load_dwordx4 v[150:153], v[150:151], off offset:1248
	s_waitcnt vmcnt(0) lgkmcnt(0)
	v_mul_f64 v[154:155], v[148:149], v[152:153]
	v_fma_f64 v[154:155], v[146:147], v[150:151], -v[154:155]
	v_mul_f64 v[146:147], v[146:147], v[152:153]
	v_fma_f64 v[156:157], v[148:149], v[150:151], v[146:147]
	global_load_dwordx4 v[150:153], v[158:159], off offset:1760
	ds_read_b128 v[146:149], v255 offset:1760
	ds_write_b128 v255, v[154:157]
	s_waitcnt vmcnt(0) lgkmcnt(1)
	v_mul_f64 v[154:155], v[148:149], v[152:153]
	v_fma_f64 v[154:155], v[146:147], v[150:151], -v[154:155]
	v_mul_f64 v[146:147], v[146:147], v[152:153]
	v_fma_f64 v[156:157], v[148:149], v[150:151], v[146:147]
	v_add_co_u32 v150, s1, 0x8000, v145
	v_add_co_ci_u32_e64 v151, s1, 0, v144, s1
	ds_read_b128 v[146:149], v255 offset:3520
	global_load_dwordx4 v[150:153], v[150:151], off offset:672
	ds_write_b128 v255, v[154:157] offset:1760
	s_waitcnt vmcnt(0) lgkmcnt(1)
	v_mul_f64 v[154:155], v[148:149], v[152:153]
	v_fma_f64 v[154:155], v[146:147], v[150:151], -v[154:155]
	v_mul_f64 v[146:147], v[146:147], v[152:153]
	v_fma_f64 v[156:157], v[148:149], v[150:151], v[146:147]
	v_add_co_u32 v150, s1, 0x8800, v145
	v_add_co_ci_u32_e64 v151, s1, 0, v144, s1
	ds_read_b128 v[146:149], v255 offset:5280
	v_add_co_u32 v158, s1, 0x9000, v145
	global_load_dwordx4 v[150:153], v[150:151], off offset:384
	v_add_co_ci_u32_e64 v159, s1, 0, v144, s1
	ds_write_b128 v255, v[154:157] offset:3520
	s_waitcnt vmcnt(0) lgkmcnt(1)
	v_mul_f64 v[154:155], v[148:149], v[152:153]
	v_fma_f64 v[154:155], v[146:147], v[150:151], -v[154:155]
	v_mul_f64 v[146:147], v[146:147], v[152:153]
	v_fma_f64 v[156:157], v[148:149], v[150:151], v[146:147]
	global_load_dwordx4 v[150:153], v[158:159], off offset:96
	ds_read_b128 v[146:149], v255 offset:7040
	ds_write_b128 v255, v[154:157] offset:5280
	s_waitcnt vmcnt(0) lgkmcnt(1)
	v_mul_f64 v[154:155], v[148:149], v[152:153]
	v_fma_f64 v[154:155], v[146:147], v[150:151], -v[154:155]
	v_mul_f64 v[146:147], v[146:147], v[152:153]
	v_fma_f64 v[156:157], v[148:149], v[150:151], v[146:147]
	global_load_dwordx4 v[150:153], v[158:159], off offset:1856
	ds_read_b128 v[146:149], v255 offset:8800
	ds_write_b128 v255, v[154:157] offset:7040
	s_waitcnt vmcnt(0) lgkmcnt(1)
	v_mul_f64 v[154:155], v[148:149], v[152:153]
	v_fma_f64 v[154:155], v[146:147], v[150:151], -v[154:155]
	v_mul_f64 v[146:147], v[146:147], v[152:153]
	v_fma_f64 v[156:157], v[148:149], v[150:151], v[146:147]
	v_add_co_u32 v150, s1, 0x9800, v145
	v_add_co_ci_u32_e64 v151, s1, 0, v144, s1
	ds_read_b128 v[146:149], v255 offset:10560
	global_load_dwordx4 v[150:153], v[150:151], off offset:1568
	ds_write_b128 v255, v[154:157] offset:8800
	s_waitcnt vmcnt(0) lgkmcnt(1)
	v_mul_f64 v[154:155], v[148:149], v[152:153]
	v_fma_f64 v[154:155], v[146:147], v[150:151], -v[154:155]
	v_mul_f64 v[146:147], v[146:147], v[152:153]
	v_fma_f64 v[156:157], v[148:149], v[150:151], v[146:147]
	v_add_co_u32 v150, s1, 0xa000, v145
	v_add_co_ci_u32_e64 v151, s1, 0, v144, s1
	ds_read_b128 v[146:149], v255 offset:12320
	global_load_dwordx4 v[150:153], v[150:151], off offset:1280
	;; [unrolled: 10-line block ×4, first 2 shown]
	ds_write_b128 v255, v[154:157] offset:14080
	s_waitcnt vmcnt(0) lgkmcnt(1)
	v_mul_f64 v[154:155], v[148:149], v[152:153]
	v_fma_f64 v[154:155], v[146:147], v[150:151], -v[154:155]
	v_mul_f64 v[146:147], v[146:147], v[152:153]
	v_fma_f64 v[156:157], v[148:149], v[150:151], v[146:147]
	v_add_co_u32 v150, s1, 0xb800, v145
	v_add_co_ci_u32_e64 v151, s1, 0, v144, s1
	ds_read_b128 v[146:149], v255 offset:17600
	v_add_co_u32 v158, s1, 0xc000, v145
	global_load_dwordx4 v[150:153], v[150:151], off offset:416
	v_add_co_ci_u32_e64 v159, s1, 0, v144, s1
	ds_write_b128 v255, v[154:157] offset:15840
	s_waitcnt vmcnt(0) lgkmcnt(1)
	v_mul_f64 v[154:155], v[148:149], v[152:153]
	v_fma_f64 v[154:155], v[146:147], v[150:151], -v[154:155]
	v_mul_f64 v[146:147], v[146:147], v[152:153]
	v_fma_f64 v[156:157], v[148:149], v[150:151], v[146:147]
	global_load_dwordx4 v[150:153], v[158:159], off offset:128
	ds_read_b128 v[146:149], v255 offset:19360
	ds_write_b128 v255, v[154:157] offset:17600
	s_waitcnt vmcnt(0) lgkmcnt(1)
	v_mul_f64 v[154:155], v[148:149], v[152:153]
	v_fma_f64 v[154:155], v[146:147], v[150:151], -v[154:155]
	v_mul_f64 v[146:147], v[146:147], v[152:153]
	v_fma_f64 v[156:157], v[148:149], v[150:151], v[146:147]
	global_load_dwordx4 v[150:153], v[158:159], off offset:1888
	ds_read_b128 v[146:149], v255 offset:21120
	ds_write_b128 v255, v[154:157] offset:19360
	s_waitcnt vmcnt(0) lgkmcnt(1)
	v_mul_f64 v[154:155], v[148:149], v[152:153]
	v_fma_f64 v[154:155], v[146:147], v[150:151], -v[154:155]
	v_mul_f64 v[146:147], v[146:147], v[152:153]
	v_fma_f64 v[156:157], v[148:149], v[150:151], v[146:147]
	v_add_co_u32 v150, s1, 0xc800, v145
	v_add_co_ci_u32_e64 v151, s1, 0, v144, s1
	ds_read_b128 v[146:149], v255 offset:22880
	global_load_dwordx4 v[150:153], v[150:151], off offset:1600
	ds_write_b128 v255, v[154:157] offset:21120
	s_waitcnt vmcnt(0) lgkmcnt(1)
	v_mul_f64 v[154:155], v[148:149], v[152:153]
	v_fma_f64 v[154:155], v[146:147], v[150:151], -v[154:155]
	v_mul_f64 v[146:147], v[146:147], v[152:153]
	v_fma_f64 v[156:157], v[148:149], v[150:151], v[146:147]
	v_add_co_u32 v150, s1, 0xd000, v145
	v_add_co_ci_u32_e64 v151, s1, 0, v144, s1
	ds_read_b128 v[146:149], v255 offset:24640
	global_load_dwordx4 v[150:153], v[150:151], off offset:1312
	;; [unrolled: 10-line block ×4, first 2 shown]
	ds_write_b128 v255, v[154:157] offset:26400
	s_waitcnt vmcnt(0) lgkmcnt(1)
	v_mul_f64 v[144:145], v[148:149], v[152:153]
	v_fma_f64 v[144:145], v[146:147], v[150:151], -v[144:145]
	v_mul_f64 v[146:147], v[146:147], v[152:153]
	v_fma_f64 v[146:147], v[148:149], v[150:151], v[146:147]
	ds_write_b128 v255, v[144:147] offset:28160
.LBB0_13:
	s_or_b32 exec_lo, exec_lo, s2
	s_waitcnt lgkmcnt(0)
	s_barrier
	buffer_gl0_inv
	s_and_saveexec_b32 s1, vcc_lo
	s_cbranch_execz .LBB0_15
; %bb.14:
	ds_read_b128 v[100:103], v255
	ds_read_b128 v[108:111], v255 offset:1760
	ds_read_b128 v[116:119], v255 offset:3520
	;; [unrolled: 1-line block ×16, first 2 shown]
.LBB0_15:
	s_or_b32 exec_lo, exec_lo, s1
	s_waitcnt lgkmcnt(0)
	v_add_f64 v[219:220], v[110:111], -v[2:3]
	v_add_f64 v[223:224], v[110:111], v[2:3]
	s_mov_b32 s8, 0x4363dd80
	s_mov_b32 s2, 0x910ea3b9
	;; [unrolled: 1-line block ×4, first 2 shown]
	v_add_f64 v[217:218], v[108:109], v[0:1]
	v_add_f64 v[151:152], v[118:119], -v[6:7]
	v_add_f64 v[229:230], v[108:109], -v[0:1]
	v_add_f64 v[153:154], v[118:119], v[6:7]
	s_mov_b32 s16, 0x7c9e640b
	s_mov_b32 s10, 0x2b2883cd
	;; [unrolled: 1-line block ×4, first 2 shown]
	v_add_f64 v[149:150], v[116:117], v[4:5]
	v_add_f64 v[161:162], v[116:117], -v[4:5]
	v_add_f64 v[159:160], v[134:135], v[10:11]
	s_mov_b32 s22, 0x3259b75e
	s_mov_b32 s23, 0x3fb79ee6
	v_add_f64 v[155:156], v[134:135], -v[10:11]
	v_add_f64 v[169:170], v[132:133], -v[8:9]
	v_add_f64 v[167:168], v[130:131], v[14:15]
	v_mul_f64 v[235:236], v[219:220], s[8:9]
	v_mul_f64 v[239:240], v[223:224], s[2:3]
	s_mov_b32 s20, 0xeb564b22
	s_mov_b32 s18, 0x6ed5f1bb
	;; [unrolled: 1-line block ×4, first 2 shown]
	v_add_f64 v[157:158], v[132:133], v[8:9]
	v_mul_f64 v[24:25], v[151:152], s[16:17]
	v_add_f64 v[165:166], v[130:131], -v[14:15]
	v_mul_f64 v[26:27], v[153:154], s[10:11]
	v_add_f64 v[179:180], v[128:129], -v[12:13]
	s_mov_b32 s36, 0x6c9a05f6
	s_mov_b32 s37, 0x3fe9895b
	v_add_f64 v[163:164], v[128:129], v[12:13]
	v_add_f64 v[185:186], v[138:139], -v[18:19]
	s_mov_b32 s40, 0x5d8e7cdc
	v_mul_f64 v[44:45], v[159:160], s[22:23]
	s_mov_b32 s41, 0xbfd71e95
	v_add_f64 v[181:182], v[138:139], v[18:19]
	v_mul_f64 v[28:29], v[155:156], s[20:21]
	s_mov_b32 s24, 0x370991
	v_mul_f64 v[46:47], v[167:168], s[18:19]
	v_fma_f64 v[144:145], v[217:218], s[2:3], -v[235:236]
	v_fma_f64 v[146:147], v[229:230], s[8:9], v[239:240]
	s_mov_b32 s25, 0x3fedd6d0
	v_add_f64 v[191:192], v[136:137], -v[16:17]
	v_add_f64 v[193:194], v[142:143], -v[22:23]
	s_mov_b32 s30, 0xacd6c6b4
	s_mov_b32 s31, 0xbfc7851a
	v_fma_f64 v[171:172], v[149:150], s[10:11], -v[24:25]
	v_mul_f64 v[30:31], v[165:166], s[36:37]
	v_fma_f64 v[173:174], v[161:162], s[16:17], v[26:27]
	v_add_f64 v[183:184], v[142:143], v[22:23]
	s_mov_b32 s26, 0x7faef3
	s_mov_b32 s27, 0xbfef7484
	v_add_f64 v[199:200], v[140:141], -v[20:21]
	v_mul_f64 v[48:49], v[185:186], s[40:41]
	v_add_f64 v[195:196], v[126:127], -v[106:107]
	s_mov_b32 s34, 0x2a9d6da3
	s_mov_b32 s35, 0x3fe58eea
	v_mul_f64 v[50:51], v[181:182], s[24:25]
	v_fma_f64 v[175:176], v[157:158], s[22:23], -v[28:29]
	v_add_f64 v[177:178], v[124:125], v[104:105]
	v_add_f64 v[189:190], v[126:127], v[106:107]
	;; [unrolled: 1-line block ×4, first 2 shown]
	s_mov_b32 s28, 0x75d4884
	s_mov_b32 s29, 0x3fe7a5f6
	v_mul_f64 v[52:53], v[193:194], s[30:31]
	v_add_f64 v[201:202], v[124:125], -v[104:105]
	v_add_f64 v[197:198], v[122:123], -v[114:115]
	s_mov_b32 s42, 0x923c349f
	s_mov_b32 s43, 0xbfeec746
	;; [unrolled: 1-line block ×3, first 2 shown]
	v_mul_f64 v[54:55], v[183:184], s[26:27]
	s_mov_b32 s39, 0xbfd183b1
	v_add_f64 v[203:204], v[120:121], -v[112:113]
	s_barrier
	v_mul_f64 v[80:81], v[195:196], s[34:35]
	buffer_gl0_inv
	v_mul_f64 v[60:61], v[189:190], s[28:29]
	v_add_f64 v[144:145], v[171:172], v[144:145]
	v_add_f64 v[146:147], v[173:174], v[146:147]
	v_fma_f64 v[171:172], v[169:170], s[20:21], v[44:45]
	v_fma_f64 v[173:174], v[163:164], s[18:19], -v[30:31]
	v_mul_f64 v[82:83], v[197:198], s[42:43]
	v_add_f64 v[144:145], v[175:176], v[144:145]
	v_add_f64 v[175:176], v[140:141], v[20:21]
	v_add_f64 v[146:147], v[171:172], v[146:147]
	v_fma_f64 v[171:172], v[179:180], s[36:37], v[46:47]
	v_add_f64 v[144:145], v[173:174], v[144:145]
	v_add_f64 v[146:147], v[171:172], v[146:147]
	;; [unrolled: 1-line block ×3, first 2 shown]
	v_fma_f64 v[173:174], v[171:172], s[24:25], -v[48:49]
	v_add_f64 v[144:145], v[173:174], v[144:145]
	v_fma_f64 v[173:174], v[191:192], s[40:41], v[50:51]
	v_add_f64 v[146:147], v[173:174], v[146:147]
	v_fma_f64 v[173:174], v[175:176], s[26:27], -v[52:53]
	v_add_f64 v[144:145], v[173:174], v[144:145]
	v_fma_f64 v[173:174], v[199:200], s[30:31], v[54:55]
	v_add_f64 v[146:147], v[173:174], v[146:147]
	;; [unrolled: 4-line block ×3, first 2 shown]
	v_add_f64 v[173:174], v[120:121], v[112:113]
	v_fma_f64 v[187:188], v[173:174], s[38:39], -v[82:83]
	v_add_f64 v[144:145], v[187:188], v[144:145]
	v_add_f64 v[187:188], v[122:123], v[114:115]
	v_mul_f64 v[62:63], v[187:188], s[38:39]
	v_fma_f64 v[246:247], v[203:204], s[42:43], v[62:63]
	v_add_f64 v[146:147], v[246:247], v[146:147]
	s_and_saveexec_b32 s1, vcc_lo
	s_cbranch_execz .LBB0_17
; %bb.16:
	v_add_f64 v[110:111], v[102:103], v[110:111]
	v_add_f64 v[108:109], v[100:101], v[108:109]
	s_mov_b32 s45, 0xbfe9895b
	s_mov_b32 s44, s36
	;; [unrolled: 1-line block ×6, first 2 shown]
	v_mov_b32_e32 v68, v248
	v_mul_f64 v[246:247], v[219:220], s[44:45]
	v_mov_b32_e32 v69, v249
	v_mov_b32_e32 v70, v250
	;; [unrolled: 1-line block ×3, first 2 shown]
	v_mul_f64 v[248:249], v[219:220], s[48:49]
	v_mov_b32_e32 v95, v35
	v_mov_b32_e32 v99, v39
	;; [unrolled: 1-line block ×7, first 2 shown]
	s_mov_b32 s47, 0x3fd71e95
	v_add_f64 v[110:111], v[110:111], v[118:119]
	v_add_f64 v[108:109], v[108:109], v[116:117]
	s_mov_b32 s46, s40
	v_mov_b32_e32 v98, v38
	v_mov_b32_e32 v97, v37
	;; [unrolled: 1-line block ×18, first 2 shown]
	v_fma_f64 v[209:210], v[217:218], s[18:19], -v[246:247]
	v_add_f64 v[110:111], v[110:111], v[134:135]
	v_add_f64 v[108:109], v[108:109], v[132:133]
	v_fma_f64 v[246:247], v[217:218], s[18:19], v[246:247]
	v_fma_f64 v[211:212], v[217:218], s[10:11], -v[248:249]
	v_fma_f64 v[248:249], v[217:218], s[10:11], v[248:249]
	v_mov_b32_e32 v77, v214
	v_mov_b32_e32 v78, v215
	;; [unrolled: 1-line block ×7, first 2 shown]
	s_mov_b32 s55, 0x3fefdd0d
	s_mov_b32 s54, s20
	v_mov_b32_e32 v64, v241
	v_mov_b32_e32 v65, v242
	v_mov_b32_e32 v66, v243
	v_mov_b32_e32 v67, v244
	v_mul_f64 v[243:244], v[203:204], s[54:55]
	s_mov_b32 s52, s42
	s_mov_b32 s57, 0x3fe0d888
	;; [unrolled: 1-line block ×3, first 2 shown]
	v_add_f64 v[110:111], v[110:111], v[130:131]
	v_add_f64 v[108:109], v[108:109], v[128:129]
	v_mul_f64 v[128:129], v[229:230], s[50:51]
	v_add_f64 v[110:111], v[110:111], v[138:139]
	v_add_f64 v[108:109], v[108:109], v[136:137]
	;; [unrolled: 1-line block ×4, first 2 shown]
	v_fma_f64 v[142:143], v[223:224], s[28:29], -v[128:129]
	v_fma_f64 v[128:129], v[223:224], s[28:29], v[128:129]
	v_add_f64 v[110:111], v[110:111], v[126:127]
	v_add_f64 v[108:109], v[108:109], v[124:125]
	v_mul_f64 v[124:125], v[229:230], s[44:45]
	v_mul_f64 v[126:127], v[229:230], s[48:49]
	v_add_f64 v[142:143], v[102:103], v[142:143]
	v_add_f64 v[128:129], v[102:103], v[128:129]
	v_add_f64 v[110:111], v[110:111], v[122:123]
	v_add_f64 v[108:109], v[108:109], v[120:121]
	v_mul_f64 v[122:123], v[229:230], s[40:41]
	v_mul_f64 v[120:121], v[229:230], s[20:21]
	v_fma_f64 v[138:139], v[223:224], s[18:19], v[124:125]
	v_fma_f64 v[124:125], v[223:224], s[18:19], -v[124:125]
	v_fma_f64 v[140:141], v[223:224], s[10:11], v[126:127]
	v_fma_f64 v[126:127], v[223:224], s[10:11], -v[126:127]
	v_add_f64 v[116:117], v[110:111], v[114:115]
	v_add_f64 v[118:119], v[108:109], v[112:113]
	v_mul_f64 v[108:109], v[229:230], s[8:9]
	v_mul_f64 v[110:111], v[217:218], s[2:3]
	;; [unrolled: 1-line block ×4, first 2 shown]
	v_fma_f64 v[136:137], v[223:224], s[24:25], -v[122:123]
	v_fma_f64 v[134:135], v[223:224], s[22:23], v[120:121]
	v_fma_f64 v[120:121], v[223:224], s[22:23], -v[120:121]
	v_fma_f64 v[122:123], v[223:224], s[24:25], v[122:123]
	v_mul_f64 v[229:230], v[219:220], s[42:43]
	v_add_f64 v[124:125], v[102:103], v[124:125]
	v_add_f64 v[140:141], v[102:103], v[140:141]
	v_add_f64 v[126:127], v[102:103], v[126:127]
	v_add_f64 v[106:107], v[116:117], v[106:107]
	v_mul_f64 v[116:117], v[161:162], s[46:47]
	v_add_f64 v[108:109], v[239:240], -v[108:109]
	v_add_f64 v[110:111], v[110:111], v[235:236]
	v_fma_f64 v[130:131], v[223:224], s[26:27], v[112:113]
	v_fma_f64 v[112:113], v[223:224], s[26:27], -v[112:113]
	v_fma_f64 v[132:133], v[223:224], s[38:39], -v[114:115]
	v_fma_f64 v[114:115], v[223:224], s[38:39], v[114:115]
	v_mul_f64 v[223:224], v[219:220], s[30:31]
	v_mul_f64 v[235:236], v[219:220], s[20:21]
	;; [unrolled: 1-line block ×4, first 2 shown]
	v_add_f64 v[0:1], v[102:103], v[136:137]
	v_fma_f64 v[252:253], v[217:218], s[38:39], -v[229:230]
	v_fma_f64 v[229:230], v[217:218], s[38:39], v[229:230]
	v_add_f64 v[136:137], v[100:101], v[209:210]
	v_add_f64 v[209:210], v[100:101], v[248:249]
	;; [unrolled: 1-line block ×3, first 2 shown]
	v_mul_f64 v[118:119], v[151:152], s[46:47]
	v_add_f64 v[134:135], v[102:103], v[134:135]
	v_add_f64 v[120:121], v[102:103], v[120:121]
	buffer_store_dword v0, off, s[60:63], 0 offset:140 ; 4-byte Folded Spill
	buffer_store_dword v1, off, s[60:63], 0 offset:144 ; 4-byte Folded Spill
	v_fma_f64 v[250:251], v[217:218], s[26:27], -v[223:224]
	v_fma_f64 v[223:224], v[217:218], s[26:27], v[223:224]
	v_fma_f64 v[205:206], v[217:218], s[22:23], -v[235:236]
	v_fma_f64 v[235:236], v[217:218], s[22:23], v[235:236]
	v_fma_f64 v[207:208], v[217:218], s[24:25], v[239:240]
	v_fma_f64 v[239:240], v[217:218], s[24:25], -v[239:240]
	v_fma_f64 v[213:214], v[217:218], s[28:29], v[219:220]
	v_fma_f64 v[217:218], v[217:218], s[28:29], -v[219:220]
	v_add_f64 v[130:131], v[102:103], v[130:131]
	v_add_f64 v[221:222], v[100:101], v[110:111]
	;; [unrolled: 1-line block ×10, first 2 shown]
	v_mov_b32_e32 v108, v231
	v_mov_b32_e32 v109, v232
	v_mov_b32_e32 v110, v233
	v_mov_b32_e32 v111, v234
	v_add_f64 v[219:220], v[100:101], v[250:251]
	v_add_f64 v[250:251], v[102:103], v[112:113]
	;; [unrolled: 1-line block ×10, first 2 shown]
	v_fma_f64 v[100:101], v[153:154], s[24:25], v[116:117]
	v_fma_f64 v[102:103], v[149:150], s[24:25], -v[118:119]
	buffer_store_dword v0, off, s[60:63], 0 offset:8 ; 4-byte Folded Spill
	buffer_store_dword v1, off, s[60:63], 0 offset:12 ; 4-byte Folded Spill
	v_mul_f64 v[0:1], v[197:198], s[54:55]
	v_add_f64 v[104:105], v[104:105], v[20:21]
	v_fma_f64 v[20:21], v[153:154], s[24:25], -v[116:117]
	v_add_f64 v[100:101], v[100:101], v[130:131]
	v_mul_f64 v[130:131], v[169:170], s[8:9]
	v_add_f64 v[102:103], v[102:103], v[219:220]
	v_mul_f64 v[116:117], v[191:192], s[40:41]
	v_fma_f64 v[2:3], v[173:174], s[22:23], -v[0:1]
	v_fma_f64 v[0:1], v[173:174], s[22:23], v[0:1]
	v_add_f64 v[20:21], v[20:21], v[250:251]
	v_fma_f64 v[217:218], v[159:160], s[2:3], v[130:131]
	v_add_f64 v[116:117], v[50:51], -v[116:117]
	v_add_f64 v[100:101], v[217:218], v[100:101]
	v_mul_f64 v[217:218], v[155:156], s[8:9]
	v_fma_f64 v[219:220], v[157:158], s[2:3], -v[217:218]
	v_add_f64 v[102:103], v[219:220], v[102:103]
	v_mul_f64 v[219:220], v[179:180], s[34:35]
	v_fma_f64 v[239:240], v[167:168], s[28:29], v[219:220]
	v_add_f64 v[100:101], v[239:240], v[100:101]
	v_mul_f64 v[239:240], v[165:166], s[34:35]
	v_fma_f64 v[246:247], v[163:164], s[28:29], -v[239:240]
	v_add_f64 v[102:103], v[246:247], v[102:103]
	v_mul_f64 v[246:247], v[191:192], s[44:45]
	v_fma_f64 v[248:249], v[181:182], s[18:19], v[246:247]
	;; [unrolled: 6-line block ×4, first 2 shown]
	v_add_f64 v[100:101], v[237:238], v[100:101]
	v_mul_f64 v[237:238], v[195:196], s[42:43]
	v_fma_f64 v[241:242], v[177:178], s[38:39], -v[237:238]
	v_add_f64 v[241:242], v[241:242], v[102:103]
	v_fma_f64 v[102:103], v[187:188], s[22:23], v[243:244]
	v_add_f64 v[102:103], v[102:103], v[100:101]
	v_add_f64 v[100:101], v[2:3], v[241:242]
	;; [unrolled: 1-line block ×3, first 2 shown]
	v_fma_f64 v[22:23], v[149:150], s[24:25], v[118:119]
	v_fma_f64 v[106:107], v[159:160], s[2:3], -v[130:131]
	v_mul_f64 v[130:131], v[149:150], s[10:11]
	v_mul_f64 v[118:119], v[179:180], s[36:37]
	v_add_f64 v[22:23], v[22:23], v[223:224]
	v_add_f64 v[20:21], v[106:107], v[20:21]
	v_fma_f64 v[106:107], v[157:158], s[2:3], v[217:218]
	v_add_f64 v[130:131], v[130:131], v[24:25]
	v_add_f64 v[118:119], v[46:47], -v[118:119]
	v_mul_f64 v[217:218], v[171:172], s[24:25]
	s_clause 0x1
	buffer_load_dword v24, off, s[60:63], 0 offset:140
	buffer_load_dword v25, off, s[60:63], 0 offset:144
	v_add_f64 v[22:23], v[106:107], v[22:23]
	v_fma_f64 v[106:107], v[167:168], s[28:29], -v[219:220]
	v_mul_f64 v[219:220], v[157:158], s[22:23]
	v_add_f64 v[130:131], v[130:131], v[221:222]
	v_add_f64 v[217:218], v[217:218], v[48:49]
	;; [unrolled: 1-line block ×3, first 2 shown]
	v_fma_f64 v[106:107], v[163:164], s[28:29], v[239:240]
	v_add_f64 v[219:220], v[219:220], v[28:29]
	v_add_f64 v[22:23], v[106:107], v[22:23]
	v_fma_f64 v[106:107], v[181:182], s[18:19], -v[246:247]
	v_add_f64 v[20:21], v[106:107], v[20:21]
	v_fma_f64 v[106:107], v[171:172], s[18:19], v[248:249]
	v_mov_b32_e32 v251, v71
	v_mov_b32_e32 v250, v70
	;; [unrolled: 1-line block ×4, first 2 shown]
	v_add_f64 v[22:23], v[106:107], v[22:23]
	v_fma_f64 v[106:107], v[183:184], s[10:11], -v[227:228]
	v_add_f64 v[20:21], v[106:107], v[20:21]
	v_fma_f64 v[106:107], v[175:176], s[10:11], v[231:232]
	v_mul_f64 v[231:232], v[203:204], s[16:17]
	v_add_f64 v[22:23], v[106:107], v[22:23]
	v_fma_f64 v[106:107], v[189:190], s[38:39], -v[233:234]
	v_mul_f64 v[233:234], v[197:198], s[16:17]
	v_add_f64 v[20:21], v[106:107], v[20:21]
	v_fma_f64 v[106:107], v[177:178], s[38:39], v[237:238]
	v_add_f64 v[106:107], v[106:107], v[22:23]
	v_fma_f64 v[22:23], v[187:188], s[22:23], -v[243:244]
	v_mov_b32_e32 v244, v67
	v_mov_b32_e32 v243, v66
	;; [unrolled: 1-line block ×4, first 2 shown]
	v_add_f64 v[22:23], v[22:23], v[20:21]
	v_add_f64 v[20:21], v[0:1], v[106:107]
	;; [unrolled: 1-line block ×4, first 2 shown]
	v_mul_f64 v[16:17], v[161:162], s[16:17]
	v_mul_f64 v[106:107], v[169:170], s[20:21]
	;; [unrolled: 1-line block ×4, first 2 shown]
	v_add_f64 v[0:1], v[0:1], v[14:15]
	v_add_f64 v[2:3], v[2:3], v[12:13]
	v_add_f64 v[16:17], v[26:27], -v[16:17]
	v_add_f64 v[106:107], v[44:45], -v[106:107]
	v_add_f64 v[104:105], v[54:55], -v[104:105]
	v_add_f64 v[18:19], v[60:61], -v[18:19]
	v_add_f64 v[0:1], v[0:1], v[10:11]
	v_add_f64 v[2:3], v[2:3], v[8:9]
	;; [unrolled: 1-line block ×3, first 2 shown]
	v_mul_f64 v[215:216], v[163:164], s[18:19]
	v_add_f64 v[0:1], v[0:1], v[6:7]
	v_add_f64 v[2:3], v[2:3], v[4:5]
	;; [unrolled: 1-line block ×5, first 2 shown]
	v_mul_f64 v[130:131], v[175:176], s[26:27]
	v_mul_f64 v[4:5], v[161:162], s[56:57]
	v_add_f64 v[16:17], v[118:119], v[16:17]
	v_mul_f64 v[118:119], v[203:204], s[42:43]
	v_add_f64 v[106:107], v[215:216], v[106:107]
	v_add_f64 v[130:131], v[130:131], v[52:53]
	v_fma_f64 v[6:7], v[153:154], s[2:3], -v[4:5]
	v_fma_f64 v[4:5], v[153:154], s[2:3], v[4:5]
	v_add_f64 v[16:17], v[116:117], v[16:17]
	v_mul_f64 v[116:117], v[177:178], s[28:29]
	v_add_f64 v[106:107], v[217:218], v[106:107]
	v_add_f64 v[118:119], v[62:63], -v[118:119]
	v_add_f64 v[6:7], v[6:7], v[132:133]
	v_add_f64 v[4:5], v[4:5], v[225:226]
	;; [unrolled: 1-line block ×5, first 2 shown]
	v_mul_f64 v[106:107], v[173:174], s[38:39]
	v_add_f64 v[16:17], v[18:19], v[16:17]
	v_add_f64 v[104:105], v[116:117], v[104:105]
	;; [unrolled: 1-line block ×3, first 2 shown]
	v_mul_f64 v[116:117], v[169:170], s[40:41]
	v_add_f64 v[18:19], v[118:119], v[16:17]
	v_add_f64 v[16:17], v[106:107], v[104:105]
	v_mul_f64 v[104:105], v[161:162], s[52:53]
	v_mul_f64 v[106:107], v[151:152], s[52:53]
	v_fma_f64 v[118:119], v[159:160], s[24:25], v[116:117]
	v_fma_f64 v[12:13], v[153:154], s[38:39], v[104:105]
	v_fma_f64 v[14:15], v[149:150], s[38:39], -v[106:107]
	v_fma_f64 v[8:9], v[153:154], s[38:39], -v[104:105]
	v_fma_f64 v[10:11], v[149:150], s[38:39], v[106:107]
	v_fma_f64 v[104:105], v[159:160], s[24:25], -v[116:117]
	v_fma_f64 v[106:107], v[173:174], s[10:11], v[233:234]
	v_mul_f64 v[116:117], v[169:170], s[34:35]
	v_add_f64 v[12:13], v[12:13], v[122:123]
	v_add_f64 v[14:15], v[14:15], v[136:137]
	;; [unrolled: 1-line block ×5, first 2 shown]
	v_mul_f64 v[118:119], v[155:156], s[40:41]
	v_add_f64 v[8:9], v[104:105], v[8:9]
	v_fma_f64 v[122:123], v[157:158], s[24:25], -v[118:119]
	v_fma_f64 v[104:105], v[157:158], s[24:25], v[118:119]
	v_fma_f64 v[118:119], v[159:160], s[28:29], -v[116:117]
	v_fma_f64 v[116:117], v[159:160], s[28:29], v[116:117]
	v_add_f64 v[14:15], v[122:123], v[14:15]
	v_mul_f64 v[122:123], v[179:180], s[8:9]
	v_add_f64 v[10:11], v[104:105], v[10:11]
	v_add_f64 v[4:5], v[116:117], v[4:5]
	v_mul_f64 v[116:117], v[155:156], s[34:35]
	v_add_f64 v[6:7], v[118:119], v[6:7]
	v_fma_f64 v[130:131], v[167:168], s[2:3], v[122:123]
	v_fma_f64 v[104:105], v[167:168], s[2:3], -v[122:123]
	v_fma_f64 v[118:119], v[157:158], s[28:29], -v[116:117]
	v_fma_f64 v[116:117], v[157:158], s[28:29], v[116:117]
	v_add_f64 v[12:13], v[130:131], v[12:13]
	v_mul_f64 v[130:131], v[165:166], s[8:9]
	v_add_f64 v[8:9], v[104:105], v[8:9]
	v_fma_f64 v[136:137], v[163:164], s[2:3], -v[130:131]
	v_fma_f64 v[104:105], v[163:164], s[2:3], v[130:131]
	v_add_f64 v[14:15], v[136:137], v[14:15]
	v_mul_f64 v[136:137], v[191:192], s[54:55]
	v_add_f64 v[10:11], v[104:105], v[10:11]
	v_fma_f64 v[215:216], v[181:182], s[22:23], v[136:137]
	v_fma_f64 v[104:105], v[181:182], s[22:23], -v[136:137]
	v_add_f64 v[12:13], v[215:216], v[12:13]
	v_mul_f64 v[215:216], v[185:186], s[54:55]
	v_add_f64 v[8:9], v[104:105], v[8:9]
	v_fma_f64 v[217:218], v[171:172], s[22:23], -v[215:216]
	v_fma_f64 v[104:105], v[171:172], s[22:23], v[215:216]
	v_add_f64 v[14:15], v[217:218], v[14:15]
	v_mul_f64 v[217:218], v[199:200], s[50:51]
	v_add_f64 v[10:11], v[104:105], v[10:11]
	v_fma_f64 v[219:220], v[183:184], s[28:29], v[217:218]
	v_fma_f64 v[104:105], v[183:184], s[28:29], -v[217:218]
	;; [unrolled: 10-line block ×3, first 2 shown]
	v_add_f64 v[12:13], v[223:224], v[12:13]
	v_mul_f64 v[223:224], v[195:196], s[30:31]
	v_add_f64 v[8:9], v[104:105], v[8:9]
	v_fma_f64 v[104:105], v[177:178], s[26:27], v[223:224]
	v_fma_f64 v[227:228], v[177:178], s[26:27], -v[223:224]
	v_add_f64 v[104:105], v[104:105], v[10:11]
	v_fma_f64 v[10:11], v[187:188], s[10:11], -v[231:232]
	v_add_f64 v[227:228], v[227:228], v[14:15]
	v_fma_f64 v[14:15], v[187:188], s[10:11], v[231:232]
	v_add_f64 v[10:11], v[10:11], v[8:9]
	v_add_f64 v[8:9], v[106:107], v[104:105]
	v_mul_f64 v[104:105], v[151:152], s[56:57]
	v_add_f64 v[14:15], v[14:15], v[12:13]
	v_fma_f64 v[12:13], v[173:174], s[10:11], -v[233:234]
	v_mov_b32_e32 v234, v111
	v_mov_b32_e32 v233, v110
	;; [unrolled: 1-line block ×4, first 2 shown]
	v_fma_f64 v[106:107], v[149:150], s[2:3], -v[104:105]
	v_fma_f64 v[104:105], v[149:150], s[2:3], v[104:105]
	v_add_f64 v[12:13], v[12:13], v[227:228]
	v_mov_b32_e32 v228, v59
	v_mov_b32_e32 v227, v58
	;; [unrolled: 1-line block ×4, first 2 shown]
	v_add_f64 v[106:107], v[106:107], v[252:253]
	v_add_f64 v[104:105], v[104:105], v[229:230]
	;; [unrolled: 1-line block ×3, first 2 shown]
	v_mul_f64 v[118:119], v[179:180], s[48:49]
	v_add_f64 v[104:105], v[116:117], v[104:105]
	v_mul_f64 v[116:117], v[161:162], s[30:31]
	v_fma_f64 v[122:123], v[167:168], s[10:11], -v[118:119]
	v_fma_f64 v[118:119], v[167:168], s[10:11], v[118:119]
	v_add_f64 v[6:7], v[122:123], v[6:7]
	v_add_f64 v[4:5], v[118:119], v[4:5]
	v_mul_f64 v[118:119], v[165:166], s[48:49]
	v_fma_f64 v[122:123], v[163:164], s[10:11], -v[118:119]
	v_fma_f64 v[118:119], v[163:164], s[10:11], v[118:119]
	v_add_f64 v[106:107], v[122:123], v[106:107]
	v_mul_f64 v[122:123], v[191:192], s[30:31]
	v_add_f64 v[104:105], v[118:119], v[104:105]
	v_mul_f64 v[118:119], v[169:170], s[52:53]
	v_fma_f64 v[124:125], v[181:182], s[26:27], -v[122:123]
	v_fma_f64 v[122:123], v[181:182], s[26:27], v[122:123]
	v_add_f64 v[6:7], v[124:125], v[6:7]
	v_add_f64 v[4:5], v[122:123], v[4:5]
	v_mul_f64 v[122:123], v[185:186], s[30:31]
	v_fma_f64 v[124:125], v[171:172], s[26:27], -v[122:123]
	v_fma_f64 v[122:123], v[171:172], s[26:27], v[122:123]
	v_add_f64 v[106:107], v[124:125], v[106:107]
	v_mul_f64 v[124:125], v[199:200], s[54:55]
	v_add_f64 v[104:105], v[122:123], v[104:105]
	v_fma_f64 v[130:131], v[183:184], s[22:23], -v[124:125]
	v_fma_f64 v[124:125], v[183:184], s[22:23], v[124:125]
	v_add_f64 v[6:7], v[130:131], v[6:7]
	v_add_f64 v[4:5], v[124:125], v[4:5]
	v_mul_f64 v[124:125], v[193:194], s[54:55]
	s_mov_b32 s55, 0x3fc7851a
	s_mov_b32 s54, s30
	v_fma_f64 v[130:131], v[175:176], s[22:23], -v[124:125]
	v_fma_f64 v[124:125], v[175:176], s[22:23], v[124:125]
	v_add_f64 v[106:107], v[130:131], v[106:107]
	v_mul_f64 v[130:131], v[201:202], s[40:41]
	v_add_f64 v[104:105], v[124:125], v[104:105]
	v_mul_f64 v[124:125], v[151:152], s[44:45]
	v_fma_f64 v[132:133], v[189:190], s[24:25], -v[130:131]
	v_fma_f64 v[130:131], v[189:190], s[24:25], v[130:131]
	v_add_f64 v[6:7], v[132:133], v[6:7]
	v_fma_f64 v[132:133], v[153:154], s[26:27], v[116:117]
	v_add_f64 v[130:131], v[130:131], v[4:5]
	v_mul_f64 v[4:5], v[195:196], s[40:41]
	v_fma_f64 v[116:117], v[153:154], s[26:27], -v[116:117]
	v_add_f64 v[132:133], v[132:133], v[134:135]
	v_fma_f64 v[134:135], v[177:178], s[24:25], -v[4:5]
	v_add_f64 v[116:117], v[116:117], v[120:121]
	v_fma_f64 v[120:121], v[159:160], s[38:39], v[118:119]
	v_fma_f64 v[118:119], v[159:160], s[38:39], -v[118:119]
	v_fma_f64 v[4:5], v[177:178], s[24:25], v[4:5]
	v_add_f64 v[134:135], v[134:135], v[106:107]
	v_mul_f64 v[106:107], v[151:152], s[30:31]
	v_add_f64 v[120:121], v[120:121], v[132:133]
	v_add_f64 v[116:117], v[118:119], v[116:117]
	v_mul_f64 v[118:119], v[179:180], s[46:47]
	v_mul_f64 v[132:133], v[155:156], s[52:53]
	v_fma_f64 v[136:137], v[149:150], s[26:27], -v[106:107]
	v_fma_f64 v[106:107], v[149:150], s[26:27], v[106:107]
	v_fma_f64 v[122:123], v[167:168], s[24:25], v[118:119]
	v_fma_f64 v[138:139], v[157:158], s[38:39], -v[132:133]
	v_fma_f64 v[118:119], v[167:168], s[24:25], -v[118:119]
	v_add_f64 v[136:137], v[136:137], v[205:206]
	v_add_f64 v[106:107], v[106:107], v[235:236]
	;; [unrolled: 1-line block ×3, first 2 shown]
	v_mul_f64 v[122:123], v[161:162], s[44:45]
	v_add_f64 v[116:117], v[118:119], v[116:117]
	v_mul_f64 v[118:119], v[191:192], s[48:49]
	v_add_f64 v[136:137], v[138:139], v[136:137]
	v_fma_f64 v[138:139], v[153:154], s[18:19], v[122:123]
	v_fma_f64 v[122:123], v[153:154], s[18:19], -v[122:123]
	v_add_f64 v[138:139], v[138:139], v[140:141]
	v_mul_f64 v[140:141], v[165:166], s[46:47]
	v_add_f64 v[122:123], v[122:123], v[126:127]
	v_fma_f64 v[126:127], v[157:158], s[38:39], v[132:133]
	v_fma_f64 v[205:206], v[163:164], s[24:25], -v[140:141]
	v_add_f64 v[106:107], v[126:127], v[106:107]
	v_mul_f64 v[126:127], v[169:170], s[54:55]
	v_add_f64 v[136:137], v[205:206], v[136:137]
	v_fma_f64 v[205:206], v[149:150], s[18:19], -v[124:125]
	v_fma_f64 v[124:125], v[149:150], s[18:19], v[124:125]
	v_fma_f64 v[132:133], v[159:160], s[26:27], v[126:127]
	v_fma_f64 v[126:127], v[159:160], s[26:27], -v[126:127]
	v_add_f64 v[205:206], v[205:206], v[207:208]
	v_fma_f64 v[207:208], v[181:182], s[10:11], v[118:119]
	v_add_f64 v[132:133], v[132:133], v[138:139]
	v_mul_f64 v[138:139], v[185:186], s[48:49]
	v_add_f64 v[122:123], v[126:127], v[122:123]
	v_fma_f64 v[126:127], v[163:164], s[24:25], v[140:141]
	v_fma_f64 v[118:119], v[181:182], s[10:11], -v[118:119]
	v_add_f64 v[124:125], v[124:125], v[209:210]
	v_mul_f64 v[209:210], v[165:166], s[52:53]
	v_add_f64 v[120:121], v[207:208], v[120:121]
	v_fma_f64 v[207:208], v[171:172], s[10:11], -v[138:139]
	v_add_f64 v[106:107], v[126:127], v[106:107]
	v_mul_f64 v[126:127], v[179:180], s[52:53]
	v_add_f64 v[116:117], v[118:119], v[116:117]
	v_mul_f64 v[118:119], v[199:200], s[8:9]
	;; [unrolled: 2-line block ×3, first 2 shown]
	v_fma_f64 v[140:141], v[167:168], s[38:39], v[126:127]
	v_fma_f64 v[215:216], v[157:158], s[26:27], -v[207:208]
	v_add_f64 v[132:133], v[140:141], v[132:133]
	v_mul_f64 v[140:141], v[193:194], s[8:9]
	v_add_f64 v[205:206], v[215:216], v[205:206]
	v_fma_f64 v[215:216], v[183:184], s[2:3], v[118:119]
	v_fma_f64 v[118:119], v[183:184], s[2:3], -v[118:119]
	v_add_f64 v[120:121], v[215:216], v[120:121]
	v_fma_f64 v[215:216], v[175:176], s[2:3], -v[140:141]
	v_add_f64 v[116:117], v[118:119], v[116:117]
	v_fma_f64 v[118:119], v[171:172], s[10:11], v[138:139]
	v_add_f64 v[136:137], v[215:216], v[136:137]
	v_fma_f64 v[215:216], v[163:164], s[38:39], -v[209:210]
	v_add_f64 v[106:107], v[118:119], v[106:107]
	v_mul_f64 v[118:119], v[191:192], s[34:35]
	v_add_f64 v[205:206], v[215:216], v[205:206]
	v_add_f64 v[215:216], v[4:5], v[104:105]
	v_mul_f64 v[4:5], v[201:202], s[36:37]
	v_fma_f64 v[104:105], v[189:190], s[18:19], v[4:5]
	v_fma_f64 v[4:5], v[189:190], s[18:19], -v[4:5]
	v_add_f64 v[217:218], v[104:105], v[120:121]
	v_fma_f64 v[104:105], v[167:168], s[38:39], -v[126:127]
	v_add_f64 v[116:117], v[4:5], v[116:117]
	v_fma_f64 v[4:5], v[181:182], s[28:29], -v[118:119]
	v_fma_f64 v[120:121], v[181:182], s[28:29], v[118:119]
	v_add_f64 v[104:105], v[104:105], v[122:123]
	v_mul_f64 v[122:123], v[195:196], s[36:37]
	v_add_f64 v[120:121], v[120:121], v[132:133]
	v_add_f64 v[4:5], v[4:5], v[104:105]
	v_fma_f64 v[104:105], v[175:176], s[2:3], v[140:141]
	v_fma_f64 v[126:127], v[177:178], s[18:19], -v[122:123]
	v_fma_f64 v[122:123], v[177:178], s[18:19], v[122:123]
	v_add_f64 v[104:105], v[104:105], v[106:107]
	v_mul_f64 v[106:107], v[199:200], s[40:41]
	v_add_f64 v[132:133], v[126:127], v[136:137]
	v_fma_f64 v[126:127], v[157:158], s[26:27], v[207:208]
	v_add_f64 v[104:105], v[122:123], v[104:105]
	v_fma_f64 v[118:119], v[183:184], s[24:25], v[106:107]
	v_fma_f64 v[106:107], v[183:184], s[24:25], -v[106:107]
	v_add_f64 v[124:125], v[126:127], v[124:125]
	v_mul_f64 v[126:127], v[185:186], s[34:35]
	v_add_f64 v[118:119], v[118:119], v[120:121]
	v_fma_f64 v[120:121], v[163:164], s[38:39], v[209:210]
	v_add_f64 v[4:5], v[106:107], v[4:5]
	v_fma_f64 v[136:137], v[171:172], s[28:29], -v[126:127]
	v_fma_f64 v[106:107], v[171:172], s[28:29], v[126:127]
	v_add_f64 v[120:121], v[120:121], v[124:125]
	v_mul_f64 v[124:125], v[193:194], s[40:41]
	v_add_f64 v[136:137], v[136:137], v[205:206]
	v_mov_b32_e32 v208, v39
	v_mov_b32_e32 v207, v38
	;; [unrolled: 1-line block ×8, first 2 shown]
	v_add_f64 v[106:107], v[106:107], v[120:121]
	v_fma_f64 v[138:139], v[175:176], s[24:25], -v[124:125]
	v_mul_f64 v[120:121], v[161:162], s[20:21]
	v_fma_f64 v[124:125], v[175:176], s[24:25], v[124:125]
	v_add_f64 v[136:137], v[138:139], v[136:137]
	v_mul_f64 v[138:139], v[161:162], s[50:51]
	v_fma_f64 v[126:127], v[153:154], s[22:23], -v[120:121]
	v_fma_f64 v[120:121], v[153:154], s[22:23], v[120:121]
	v_add_f64 v[106:107], v[124:125], v[106:107]
	v_mul_f64 v[124:125], v[197:198], s[34:35]
	v_fma_f64 v[140:141], v[153:154], s[28:29], -v[138:139]
	v_add_f64 v[126:127], v[126:127], v[142:143]
	v_mul_f64 v[142:143], v[151:152], s[20:21]
	v_fma_f64 v[138:139], v[153:154], s[28:29], v[138:139]
	v_mul_f64 v[151:152], v[151:152], s[50:51]
	v_add_f64 v[120:121], v[120:121], v[128:129]
	s_waitcnt vmcnt(0)
	v_add_f64 v[110:111], v[140:141], v[24:25]
	s_clause 0x1
	buffer_load_dword v24, off, s[60:63], 0 offset:8
	buffer_load_dword v25, off, s[60:63], 0 offset:12
	v_fma_f64 v[153:154], v[149:150], s[22:23], v[142:143]
	v_fma_f64 v[142:143], v[149:150], s[22:23], -v[142:143]
	v_fma_f64 v[161:162], v[149:150], s[28:29], v[151:152]
	v_fma_f64 v[148:149], v[149:150], s[28:29], -v[151:152]
	v_add_f64 v[114:115], v[138:139], v[114:115]
	v_mul_f64 v[138:139], v[155:156], s[44:45]
	v_add_f64 v[140:141], v[153:154], v[211:212]
	v_add_f64 v[128:129], v[142:143], v[213:214]
	v_mul_f64 v[142:143], v[169:170], s[44:45]
	v_mul_f64 v[154:155], v[155:156], s[48:49]
	v_add_f64 v[112:113], v[161:162], v[112:113]
	v_mov_b32_e32 v212, v43
	v_mov_b32_e32 v211, v42
	;; [unrolled: 1-line block ×8, first 2 shown]
	v_fma_f64 v[150:151], v[159:160], s[18:19], -v[142:143]
	v_fma_f64 v[142:143], v[159:160], s[18:19], v[142:143]
	v_fma_f64 v[161:162], v[157:158], s[10:11], v[154:155]
	v_fma_f64 v[154:155], v[157:158], s[10:11], -v[154:155]
	v_add_f64 v[126:127], v[150:151], v[126:127]
	v_mul_f64 v[150:151], v[169:170], s[48:49]
	v_add_f64 v[120:121], v[142:143], v[120:121]
	v_add_f64 v[112:113], v[161:162], v[112:113]
	v_fma_f64 v[152:153], v[159:160], s[10:11], -v[150:151]
	v_fma_f64 v[150:151], v[159:160], s[10:11], v[150:151]
	v_fma_f64 v[159:160], v[157:158], s[18:19], v[138:139]
	v_fma_f64 v[138:139], v[157:158], s[18:19], -v[138:139]
	v_add_f64 v[110:111], v[152:153], v[110:111]
	v_add_f64 v[114:115], v[150:151], v[114:115]
	v_mul_f64 v[150:151], v[165:166], s[30:31]
	v_add_f64 v[128:129], v[138:139], v[128:129]
	v_mul_f64 v[138:139], v[179:180], s[30:31]
	v_mul_f64 v[152:153], v[165:166], s[20:21]
	v_add_f64 v[140:141], v[159:160], v[140:141]
	v_mul_f64 v[160:161], v[185:186], s[56:57]
	v_fma_f64 v[156:157], v[163:164], s[26:27], v[150:151]
	v_fma_f64 v[150:151], v[163:164], s[26:27], -v[150:151]
	v_fma_f64 v[142:143], v[167:168], s[26:27], -v[138:139]
	v_fma_f64 v[138:139], v[167:168], s[26:27], v[138:139]
	v_fma_f64 v[158:159], v[163:164], s[22:23], v[152:153]
	v_fma_f64 v[152:153], v[163:164], s[22:23], -v[152:153]
	v_mul_f64 v[162:163], v[199:200], s[44:45]
	v_mul_f64 v[164:165], v[193:194], s[44:45]
	v_add_f64 v[140:141], v[156:157], v[140:141]
	v_mul_f64 v[156:157], v[185:186], s[42:43]
	v_add_f64 v[126:127], v[142:143], v[126:127]
	;; [unrolled: 2-line block ×3, first 2 shown]
	v_add_f64 v[120:121], v[138:139], v[120:121]
	v_mul_f64 v[138:139], v[199:200], s[52:53]
	v_add_f64 v[128:129], v[150:151], v[128:129]
	v_mul_f64 v[185:186], v[197:198], s[8:9]
	s_waitcnt vmcnt(0)
	v_add_f64 v[108:109], v[148:149], v[24:25]
	v_fma_f64 v[148:149], v[167:168], s[22:23], -v[142:143]
	v_fma_f64 v[142:143], v[167:168], s[22:23], v[142:143]
	v_mul_f64 v[166:167], v[193:194], s[52:53]
	v_fma_f64 v[168:169], v[183:184], s[38:39], -v[138:139]
	v_fma_f64 v[138:139], v[183:184], s[38:39], v[138:139]
	v_fma_f64 v[193:194], v[173:174], s[28:29], -v[124:125]
	v_add_f64 v[108:109], v[154:155], v[108:109]
	v_add_f64 v[110:111], v[148:149], v[110:111]
	v_mul_f64 v[148:149], v[191:192], s[56:57]
	v_mul_f64 v[154:155], v[191:192], s[42:43]
	v_add_f64 v[114:115], v[142:143], v[114:115]
	v_fma_f64 v[142:143], v[171:172], s[38:39], v[156:157]
	v_fma_f64 v[156:157], v[171:172], s[38:39], -v[156:157]
	v_fma_f64 v[191:192], v[173:174], s[2:3], v[185:186]
	v_fma_f64 v[185:186], v[173:174], s[2:3], -v[185:186]
	v_add_f64 v[108:109], v[152:153], v[108:109]
	v_mul_f64 v[152:153], v[201:202], s[20:21]
	v_fma_f64 v[158:159], v[181:182], s[2:3], -v[148:149]
	v_fma_f64 v[150:151], v[181:182], s[38:39], -v[154:155]
	v_fma_f64 v[148:149], v[181:182], s[2:3], v[148:149]
	v_fma_f64 v[154:155], v[181:182], s[38:39], v[154:155]
	v_add_f64 v[112:113], v[142:143], v[112:113]
	v_fma_f64 v[142:143], v[183:184], s[18:19], -v[162:163]
	v_mul_f64 v[181:182], v[195:196], s[20:21]
	v_fma_f64 v[162:163], v[183:184], s[18:19], v[162:163]
	v_mul_f64 v[183:184], v[197:198], s[30:31]
	v_add_f64 v[108:109], v[156:157], v[108:109]
	v_add_f64 v[126:127], v[158:159], v[126:127]
	v_fma_f64 v[158:159], v[171:172], s[2:3], v[160:161]
	v_fma_f64 v[160:161], v[171:172], s[2:3], -v[160:161]
	v_add_f64 v[110:111], v[150:151], v[110:111]
	v_add_f64 v[120:121], v[148:149], v[120:121]
	v_fma_f64 v[148:149], v[175:176], s[38:39], v[166:167]
	v_fma_f64 v[166:167], v[175:176], s[38:39], -v[166:167]
	v_add_f64 v[114:115], v[154:155], v[114:115]
	v_mul_f64 v[154:155], v[195:196], s[16:17]
	v_mul_f64 v[150:151], v[201:202], s[16:17]
	;; [unrolled: 1-line block ×3, first 2 shown]
	v_add_f64 v[126:127], v[168:169], v[126:127]
	v_add_f64 v[140:141], v[158:159], v[140:141]
	;; [unrolled: 1-line block ×3, first 2 shown]
	v_fma_f64 v[160:161], v[189:190], s[22:23], -v[152:153]
	v_mul_f64 v[168:169], v[201:202], s[8:9]
	v_fma_f64 v[158:159], v[175:176], s[18:19], v[164:165]
	v_fma_f64 v[164:165], v[175:176], s[18:19], -v[164:165]
	v_add_f64 v[110:111], v[142:143], v[110:111]
	v_add_f64 v[120:121], v[138:139], v[120:121]
	v_fma_f64 v[138:139], v[177:178], s[10:11], v[154:155]
	v_fma_f64 v[179:180], v[189:190], s[10:11], -v[150:151]
	v_mul_f64 v[142:143], v[203:204], s[44:45]
	v_fma_f64 v[152:153], v[189:190], s[22:23], v[152:153]
	v_fma_f64 v[175:176], v[177:178], s[22:23], -v[181:182]
	v_add_f64 v[114:115], v[162:163], v[114:115]
	v_mul_f64 v[162:163], v[197:198], s[46:47]
	v_fma_f64 v[154:155], v[177:178], s[10:11], -v[154:155]
	v_fma_f64 v[150:151], v[189:190], s[10:11], v[150:151]
	v_add_f64 v[140:141], v[148:149], v[140:141]
	v_mul_f64 v[148:149], v[203:204], s[34:35]
	v_add_f64 v[156:157], v[160:161], v[4:5]
	v_fma_f64 v[4:5], v[189:190], s[2:3], -v[168:169]
	v_add_f64 v[128:129], v[166:167], v[128:129]
	v_fma_f64 v[166:167], v[189:190], s[2:3], v[168:169]
	v_mul_f64 v[168:169], v[203:204], s[8:9]
	v_fma_f64 v[160:161], v[177:178], s[22:23], v[181:182]
	v_add_f64 v[108:109], v[164:165], v[108:109]
	v_add_f64 v[112:113], v[158:159], v[112:113]
	v_fma_f64 v[158:159], v[177:178], s[2:3], v[170:171]
	v_add_f64 v[126:127], v[179:180], v[126:127]
	v_mul_f64 v[179:180], v[203:204], s[46:47]
	v_mul_f64 v[181:182], v[203:204], s[30:31]
	v_fma_f64 v[170:171], v[177:178], s[2:3], -v[170:171]
	v_mul_f64 v[177:178], v[197:198], s[44:45]
	v_add_f64 v[152:153], v[152:153], v[118:119]
	v_fma_f64 v[189:190], v[173:174], s[26:27], v[183:184]
	v_add_f64 v[136:137], v[175:176], v[136:137]
	v_fma_f64 v[175:176], v[173:174], s[24:25], v[162:163]
	v_add_f64 v[150:151], v[150:151], v[120:121]
	v_add_f64 v[120:121], v[2:3], v[32:33]
	v_add_f64 v[138:139], v[138:139], v[140:141]
	v_fma_f64 v[140:141], v[187:188], s[28:29], v[148:149]
	v_add_f64 v[164:165], v[4:5], v[110:111]
	v_fma_f64 v[110:111], v[187:188], s[28:29], -v[148:149]
	v_fma_f64 v[4:5], v[187:188], s[18:19], -v[142:143]
	;; [unrolled: 1-line block ×3, first 2 shown]
	v_add_f64 v[148:149], v[160:161], v[106:107]
	v_add_f64 v[154:155], v[154:155], v[128:129]
	v_fma_f64 v[142:143], v[187:188], s[18:19], v[142:143]
	v_add_f64 v[112:113], v[158:159], v[112:113]
	v_fma_f64 v[158:159], v[173:174], s[28:29], v[124:125]
	v_fma_f64 v[118:119], v[187:188], s[24:25], -v[179:180]
	v_fma_f64 v[160:161], v[187:188], s[26:27], -v[181:182]
	v_fma_f64 v[168:169], v[187:188], s[2:3], v[168:169]
	v_fma_f64 v[128:129], v[173:174], s[18:19], v[177:178]
	v_fma_f64 v[177:178], v[173:174], s[18:19], -v[177:178]
	v_fma_f64 v[179:180], v[187:188], s[24:25], v[179:180]
	v_fma_f64 v[181:182], v[187:188], s[26:27], v[181:182]
	v_add_f64 v[166:167], v[166:167], v[114:115]
	v_add_f64 v[170:171], v[170:171], v[108:109]
	;; [unrolled: 1-line block ×6, first 2 shown]
	buffer_load_dword v1, off, s[60:63], 0 offset:136 ; 4-byte Folded Reload
	v_fma_f64 v[6:7], v[173:174], s[24:25], -v[162:163]
	v_fma_f64 v[162:163], v[173:174], s[26:27], -v[183:184]
	v_add_f64 v[116:117], v[189:190], v[112:113]
	v_add_f64 v[114:115], v[118:119], v[126:127]
	;; [unrolled: 1-line block ×9, first 2 shown]
	v_mov_b32_e32 v0, 4
	v_add_f64 v[130:131], v[140:141], v[217:218]
	v_add_f64 v[128:129], v[193:194], v[132:133]
	v_add_f64 v[134:135], v[168:169], v[152:153]
	v_add_f64 v[132:133], v[185:186], v[136:137]
	v_add_f64 v[138:139], v[179:180], v[150:151]
	v_mov_b32_e32 v32, v92
	v_mov_b32_e32 v216, v79
	v_add_f64 v[142:143], v[181:182], v[166:167]
	v_mov_b32_e32 v33, v93
	v_mov_b32_e32 v34, v94
	v_add_f64 v[136:137], v[6:7], v[154:155]
	v_add_f64 v[140:141], v[162:163], v[170:171]
	v_mov_b32_e32 v35, v95
	v_mov_b32_e32 v215, v78
	;; [unrolled: 1-line block ×4, first 2 shown]
	s_waitcnt vmcnt(0)
	v_lshlrev_b32_sdwa v0, v0, v1 dst_sel:DWORD dst_unused:UNUSED_PAD src0_sel:DWORD src1_sel:WORD_0
	ds_write_b128 v0, v[120:123]
	ds_write_b128 v0, v[116:119] offset:16
	ds_write_b128 v0, v[112:115] offset:32
	ds_write_b128 v0, v[108:111] offset:48
	ds_write_b128 v0, v[104:107] offset:64
	ds_write_b128 v0, v[2:5] offset:80
	ds_write_b128 v0, v[8:11] offset:96
	ds_write_b128 v0, v[16:19] offset:112
	ds_write_b128 v0, v[20:23] offset:128
	ds_write_b128 v0, v[100:103] offset:144
	ds_write_b128 v0, v[144:147] offset:160
	ds_write_b128 v0, v[12:15] offset:176
	ds_write_b128 v0, v[124:127] offset:192
	ds_write_b128 v0, v[128:131] offset:208
	ds_write_b128 v0, v[132:135] offset:224
	ds_write_b128 v0, v[136:139] offset:240
	ds_write_b128 v0, v[140:143] offset:256
.LBB0_17:
	s_or_b32 exec_lo, exec_lo, s1
	s_waitcnt lgkmcnt(0)
	s_waitcnt_vscnt null, 0x0
	s_barrier
	buffer_gl0_inv
	ds_read_b128 v[0:3], v255 offset:8976
	ds_read_b128 v[4:7], v255 offset:14960
	;; [unrolled: 1-line block ×9, first 2 shown]
	s_clause 0xf
	buffer_load_dword v28, off, s[60:63], 0 offset:40
	buffer_load_dword v29, off, s[60:63], 0 offset:44
	;; [unrolled: 1-line block ×16, first 2 shown]
	ds_read_b128 v[112:115], v255
	s_clause 0xb
	buffer_load_dword v24, off, s[60:63], 0 offset:24
	buffer_load_dword v25, off, s[60:63], 0 offset:28
	;; [unrolled: 1-line block ×12, first 2 shown]
	s_mov_b32 s10, 0x134454ff
	s_mov_b32 s11, 0xbfee6f0e
	;; [unrolled: 1-line block ×8, first 2 shown]
	s_waitcnt lgkmcnt(4)
	v_mul_f64 v[126:127], v[90:91], v[22:23]
	v_mul_f64 v[90:91], v[90:91], v[20:21]
	s_waitcnt lgkmcnt(3)
	v_mul_f64 v[128:129], v[86:87], v[102:103]
	v_mul_f64 v[86:87], v[86:87], v[100:101]
	s_mov_b32 s2, 0x372fe950
	s_mov_b32 s3, 0x3fd3c6ef
	;; [unrolled: 1-line block ×8, first 2 shown]
	s_waitcnt vmcnt(0) lgkmcnt(0)
	s_barrier
	buffer_gl0_inv
	v_fma_f64 v[20:21], v[88:89], v[20:21], v[126:127]
	v_fma_f64 v[22:23], v[88:89], v[22:23], -v[90:91]
	v_mul_f64 v[116:117], v[30:31], v[0:1]
	v_mul_f64 v[118:119], v[50:51], v[4:5]
	;; [unrolled: 1-line block ×14, first 2 shown]
	v_fma_f64 v[2:3], v[28:29], v[2:3], -v[116:117]
	v_fma_f64 v[6:7], v[48:49], v[6:7], -v[118:119]
	;; [unrolled: 1-line block ×4, first 2 shown]
	v_fma_f64 v[0:1], v[28:29], v[0:1], v[30:31]
	v_fma_f64 v[18:19], v[24:25], v[18:19], -v[124:125]
	v_fma_f64 v[4:5], v[48:49], v[4:5], v[54:55]
	v_fma_f64 v[8:9], v[44:45], v[8:9], v[50:51]
	;; [unrolled: 1-line block ×4, first 2 shown]
	v_fma_f64 v[30:31], v[84:85], v[102:103], -v[86:87]
	v_fma_f64 v[84:85], v[64:65], v[104:105], v[130:131]
	v_fma_f64 v[86:87], v[60:61], v[110:111], -v[132:133]
	v_fma_f64 v[80:81], v[64:65], v[106:107], -v[82:83]
	v_fma_f64 v[52:53], v[60:61], v[108:109], v[78:79]
	v_fma_f64 v[16:17], v[24:25], v[16:17], v[26:27]
	v_add_f64 v[24:25], v[112:113], v[20:21]
	v_add_f64 v[106:107], v[114:115], v[22:23]
	v_add_f64 v[124:125], v[2:3], -v[6:7]
	v_add_f64 v[48:49], v[6:7], v[10:11]
	v_add_f64 v[50:51], v[2:3], v[14:15]
	v_add_f64 v[122:123], v[2:3], -v[14:15]
	v_add_f64 v[126:127], v[14:15], -v[10:11]
	;; [unrolled: 1-line block ×3, first 2 shown]
	v_add_f64 v[78:79], v[4:5], v[8:9]
	v_add_f64 v[82:83], v[0:1], v[12:13]
	v_add_f64 v[88:89], v[0:1], -v[12:13]
	v_add_f64 v[90:91], v[4:5], -v[8:9]
	v_add_f64 v[26:27], v[28:29], v[84:85]
	v_add_f64 v[74:75], v[20:21], -v[28:29]
	v_add_f64 v[108:109], v[30:31], v[80:81]
	;; [unrolled: 2-line block ×3, first 2 shown]
	v_add_f64 v[120:121], v[22:23], v[86:87]
	v_add_f64 v[130:131], v[10:11], -v[14:15]
	v_add_f64 v[132:133], v[6:7], -v[10:11]
	;; [unrolled: 1-line block ×7, first 2 shown]
	v_fma_f64 v[48:49], v[48:49], -0.5, v[18:19]
	v_fma_f64 v[50:51], v[50:51], -0.5, v[18:19]
	v_add_f64 v[110:111], v[28:29], -v[84:85]
	v_add_f64 v[140:141], v[0:1], -v[4:5]
	v_add_f64 v[142:143], v[12:13], -v[8:9]
	v_fma_f64 v[78:79], v[78:79], -0.5, v[16:17]
	v_fma_f64 v[82:83], v[82:83], -0.5, v[16:17]
	v_add_f64 v[16:17], v[16:17], v[0:1]
	v_add_f64 v[0:1], v[4:5], -v[0:1]
	v_add_f64 v[148:149], v[8:9], -v[12:13]
	v_add_f64 v[2:3], v[18:19], v[2:3]
	v_fma_f64 v[18:19], v[26:27], -0.5, v[112:113]
	v_add_f64 v[24:25], v[24:25], v[28:29]
	v_fma_f64 v[26:27], v[100:101], -0.5, v[112:113]
	v_add_f64 v[28:29], v[74:75], v[76:77]
	v_fma_f64 v[74:75], v[108:109], -0.5, v[114:115]
	v_fma_f64 v[76:77], v[120:121], -0.5, v[114:115]
	v_add_f64 v[100:101], v[124:125], v[126:127]
	v_add_f64 v[108:109], v[128:129], v[130:131]
	v_add_f64 v[116:117], v[22:23], -v[30:31]
	v_add_f64 v[118:119], v[86:87], -v[80:81]
	;; [unrolled: 1-line block ×3, first 2 shown]
	v_fma_f64 v[136:137], v[88:89], s[8:9], v[48:49]
	v_fma_f64 v[138:139], v[90:91], s[10:11], v[50:51]
	;; [unrolled: 1-line block ×4, first 2 shown]
	v_add_f64 v[134:135], v[80:81], -v[86:87]
	v_fma_f64 v[112:113], v[122:123], s[10:11], v[78:79]
	v_fma_f64 v[78:79], v[122:123], s[8:9], v[78:79]
	;; [unrolled: 1-line block ×4, first 2 shown]
	v_add_f64 v[30:31], v[106:107], v[30:31]
	v_add_f64 v[4:5], v[16:17], v[4:5]
	v_add_f64 v[16:17], v[140:141], v[142:143]
	v_add_f64 v[0:1], v[0:1], v[148:149]
	v_add_f64 v[2:3], v[2:3], v[6:7]
	v_fma_f64 v[6:7], v[54:55], s[10:11], v[18:19]
	v_fma_f64 v[18:19], v[54:55], s[8:9], v[18:19]
	v_add_f64 v[24:25], v[24:25], v[84:85]
	v_fma_f64 v[120:121], v[90:91], s[18:19], v[136:137]
	v_fma_f64 v[124:125], v[88:89], s[18:19], v[138:139]
	;; [unrolled: 1-line block ×4, first 2 shown]
	v_add_f64 v[88:89], v[102:103], v[104:105]
	v_fma_f64 v[90:91], v[72:73], s[8:9], v[26:27]
	v_fma_f64 v[26:27], v[72:73], s[10:11], v[26:27]
	;; [unrolled: 1-line block ×10, first 2 shown]
	v_add_f64 v[22:23], v[22:23], v[134:135]
	v_add_f64 v[30:31], v[30:31], v[80:81]
	;; [unrolled: 1-line block ×4, first 2 shown]
	v_fma_f64 v[6:7], v[72:73], s[16:17], v[6:7]
	v_fma_f64 v[8:9], v[72:73], s[18:19], v[18:19]
	v_add_f64 v[24:25], v[24:25], v[52:53]
	v_fma_f64 v[114:115], v[100:101], s[2:3], v[120:121]
	v_fma_f64 v[120:121], v[108:109], s[2:3], v[124:125]
	;; [unrolled: 1-line block ×4, first 2 shown]
	v_add_f64 v[100:101], v[116:117], v[118:119]
	v_fma_f64 v[10:11], v[54:55], s[16:17], v[90:91]
	v_fma_f64 v[18:19], v[54:55], s[18:19], v[26:27]
	;; [unrolled: 1-line block ×10, first 2 shown]
	v_add_f64 v[30:31], v[30:31], v[86:87]
	v_add_f64 v[4:5], v[4:5], v[12:13]
	v_add_f64 v[12:13], v[2:3], v[14:15]
	v_fma_f64 v[52:53], v[28:29], s[2:3], v[6:7]
	v_fma_f64 v[86:87], v[28:29], s[2:3], v[8:9]
	v_mul_f64 v[78:79], v[114:115], s[16:17]
	v_mul_f64 v[80:81], v[120:121], s[10:11]
	;; [unrolled: 1-line block ×8, first 2 shown]
	v_fma_f64 v[28:29], v[88:89], s[2:3], v[10:11]
	v_fma_f64 v[88:89], v[88:89], s[2:3], v[18:19]
	v_fma_f64 v[26:27], v[100:101], s[2:3], v[26:27]
	v_fma_f64 v[54:55], v[100:101], s[2:3], v[54:55]
	v_fma_f64 v[72:73], v[22:23], s[2:3], v[72:73]
	v_fma_f64 v[100:101], v[22:23], s[2:3], v[20:21]
	v_add_f64 v[8:9], v[24:25], -v[4:5]
	v_add_f64 v[2:3], v[30:31], v[12:13]
	v_add_f64 v[10:11], v[30:31], -v[12:13]
	v_fma_f64 v[78:79], v[74:75], s[20:21], v[78:79]
	v_fma_f64 v[80:81], v[76:77], s[2:3], v[80:81]
	;; [unrolled: 1-line block ×8, first 2 shown]
	v_add_f64 v[0:1], v[24:25], v[4:5]
	v_add_f64 v[20:21], v[52:53], v[78:79]
	;; [unrolled: 1-line block ×9, first 2 shown]
	v_add_f64 v[24:25], v[52:53], -v[78:79]
	v_add_f64 v[28:29], v[28:29], -v[80:81]
	;; [unrolled: 1-line block ×8, first 2 shown]
	ds_write_b128 v245, v[0:3]
	ds_write_b128 v245, v[8:11] offset:1360
	ds_write_b128 v245, v[20:23] offset:272
	;; [unrolled: 1-line block ×9, first 2 shown]
	s_waitcnt lgkmcnt(0)
	s_barrier
	buffer_gl0_inv
	s_and_saveexec_b32 s1, s0
	s_cbranch_execz .LBB0_19
; %bb.18:
	ds_read_b128 v[0:3], v255
	ds_read_b128 v[20:23], v255 offset:2720
	ds_read_b128 v[16:19], v255 offset:5440
	;; [unrolled: 1-line block ×10, first 2 shown]
.LBB0_19:
	s_or_b32 exec_lo, exec_lo, s1
	s_and_saveexec_b32 s33, s0
	s_cbranch_execz .LBB0_21
; %bb.20:
	s_waitcnt lgkmcnt(9)
	v_mul_f64 v[72:73], v[34:35], v[22:23]
	s_waitcnt lgkmcnt(0)
	v_mul_f64 v[74:75], v[42:43], v[146:147]
	v_mul_f64 v[70:71], v[34:35], v[20:21]
	;; [unrolled: 1-line block ×11, first 2 shown]
	s_mov_b32 s24, 0xfd768dbf
	s_mov_b32 s25, 0xbfd207e7
	v_mul_f64 v[78:79], v[233:234], v[10:11]
	v_mul_f64 v[58:59], v[233:234], v[8:9]
	;; [unrolled: 1-line block ×4, first 2 shown]
	s_mov_b32 s16, 0xbb3a28a1
	s_mov_b32 s10, 0xf8bb580b
	;; [unrolled: 1-line block ×4, first 2 shown]
	v_fma_f64 v[72:73], v[32:33], v[20:21], v[72:73]
	v_fma_f64 v[20:21], v[40:41], v[144:145], v[74:75]
	v_fma_f64 v[68:69], v[32:33], v[22:23], -v[70:71]
	v_fma_f64 v[22:23], v[40:41], v[146:147], -v[76:77]
	v_mul_f64 v[70:71], v[207:208], v[6:7]
	v_mul_f64 v[74:75], v[215:216], v[50:51]
	v_fma_f64 v[76:77], v[248:249], v[16:17], v[86:87]
	v_fma_f64 v[16:17], v[36:37], v[52:53], v[88:89]
	v_fma_f64 v[52:53], v[248:249], v[18:19], -v[66:67]
	v_fma_f64 v[18:19], v[36:37], v[54:55], -v[90:91]
	;; [unrolled: 1-line block ×6, first 2 shown]
	s_mov_b32 s11, 0x3fe14ced
	s_mov_b32 s21, 0xbfeeb42a
	v_mul_f64 v[62:63], v[243:244], v[24:25]
	v_fma_f64 v[8:9], v[231:232], v[8:9], v[78:79]
	v_fma_f64 v[10:11], v[231:232], v[10:11], -v[58:59]
	v_fma_f64 v[12:13], v[209:210], v[12:13], v[82:83]
	v_fma_f64 v[28:29], v[225:226], v[28:29], v[84:85]
	s_mov_b32 s18, 0x43842ef
	s_mov_b32 s2, 0x7f775887
	v_add_f64 v[54:55], v[72:73], -v[20:21]
	v_add_f64 v[42:43], v[72:73], v[20:21]
	v_add_f64 v[64:65], v[68:69], -v[22:23]
	v_fma_f64 v[36:37], v[205:206], v[4:5], v[70:71]
	v_fma_f64 v[4:5], v[213:214], v[48:49], v[74:75]
	v_add_f64 v[40:41], v[68:69], v[22:23]
	v_add_f64 v[34:35], v[76:77], -v[16:17]
	v_add_f64 v[70:71], v[76:77], v[16:17]
	v_add_f64 v[38:39], v[52:53], -v[18:19]
	v_add_f64 v[58:59], v[52:53], v[18:19]
	s_mov_b32 s8, 0x8764f0ba
	s_mov_b32 s19, 0xbfefac9e
	v_add_f64 v[66:67], v[32:33], -v[6:7]
	s_mov_b32 s3, 0xbfe4f49e
	s_mov_b32 s9, 0x3feaeb8c
	;; [unrolled: 1-line block ×4, first 2 shown]
	v_mul_f64 v[80:81], v[243:244], v[26:27]
	v_fma_f64 v[26:27], v[241:242], v[26:27], -v[62:63]
	v_add_f64 v[50:51], v[12:13], -v[28:29]
	v_add_f64 v[62:63], v[14:15], -v[30:31]
	v_add_f64 v[88:89], v[32:33], v[6:7]
	v_mul_f64 v[44:45], v[54:55], s[24:25]
	v_mul_f64 v[96:97], v[54:55], s[16:17]
	;; [unrolled: 1-line block ×4, first 2 shown]
	v_add_f64 v[56:57], v[36:37], -v[4:5]
	v_add_f64 v[94:95], v[36:37], v[4:5]
	v_mul_f64 v[74:75], v[34:35], s[10:11]
	v_mul_f64 v[122:123], v[54:55], s[18:19]
	;; [unrolled: 1-line block ×5, first 2 shown]
	s_mov_b32 s0, 0x640f44db
	v_mul_f64 v[110:111], v[66:67], s[16:17]
	s_mov_b32 s1, 0xbfc2375f
	s_mov_b32 s27, 0x3fed1bb4
	;; [unrolled: 1-line block ×7, first 2 shown]
	v_add_f64 v[68:69], v[2:3], v[68:69]
	v_add_f64 v[72:73], v[0:1], v[72:73]
	v_fma_f64 v[84:85], v[40:41], s[20:21], v[44:45]
	v_fma_f64 v[44:45], v[40:41], s[20:21], -v[44:45]
	v_fma_f64 v[86:87], v[42:43], s[20:21], -v[46:47]
	v_fma_f64 v[46:47], v[42:43], s[20:21], v[46:47]
	v_mul_f64 v[102:103], v[56:57], s[16:17]
	v_fma_f64 v[126:127], v[40:41], s[2:3], v[96:97]
	v_fma_f64 v[112:113], v[58:59], s[8:9], v[74:75]
	v_fma_f64 v[74:75], v[58:59], s[8:9], -v[74:75]
	v_fma_f64 v[114:115], v[70:71], s[8:9], -v[78:79]
	v_fma_f64 v[78:79], v[70:71], s[8:9], v[78:79]
	v_add_f64 v[82:83], v[14:15], v[30:31]
	v_add_f64 v[92:93], v[12:13], v[28:29]
	v_mul_f64 v[100:101], v[50:51], s[26:27]
	v_mul_f64 v[106:107], v[62:63], s[26:27]
	;; [unrolled: 1-line block ×4, first 2 shown]
	v_fma_f64 v[140:141], v[42:43], s[2:3], -v[108:109]
	v_fma_f64 v[142:143], v[94:95], s[2:3], -v[110:111]
	v_fma_f64 v[110:111], v[94:95], s[2:3], v[110:111]
	v_fma_f64 v[96:97], v[40:41], s[2:3], -v[96:97]
	v_fma_f64 v[108:109], v[42:43], s[2:3], v[108:109]
	v_fma_f64 v[144:145], v[58:59], s[0:1], v[124:125]
	v_add_f64 v[84:85], v[2:3], v[84:85]
	v_add_f64 v[44:45], v[2:3], v[44:45]
	;; [unrolled: 1-line block ×4, first 2 shown]
	v_fma_f64 v[138:139], v[88:89], s[2:3], v[102:103]
	v_fma_f64 v[102:103], v[88:89], s[2:3], -v[102:103]
	v_add_f64 v[126:127], v[2:3], v[126:127]
	v_fma_f64 v[148:149], v[42:43], s[0:1], -v[134:135]
	s_mov_b32 s22, 0xd9c712b6
	s_mov_b32 s23, 0x3fda9628
	v_fma_f64 v[24:25], v[241:242], v[24:25], v[80:81]
	v_add_f64 v[52:53], v[68:69], v[52:53]
	v_add_f64 v[72:73], v[72:73], v[76:77]
	v_mul_f64 v[118:119], v[50:51], s[24:25]
	v_mul_f64 v[130:131], v[66:67], s[30:31]
	;; [unrolled: 1-line block ×3, first 2 shown]
	v_fma_f64 v[68:69], v[82:83], s[22:23], v[100:101]
	v_fma_f64 v[146:147], v[92:93], s[22:23], -v[106:107]
	v_fma_f64 v[100:101], v[82:83], s[22:23], -v[100:101]
	;; [unrolled: 1-line block ×3, first 2 shown]
	v_fma_f64 v[106:107], v[92:93], s[22:23], v[106:107]
	v_fma_f64 v[124:125], v[58:59], s[0:1], -v[124:125]
	v_add_f64 v[84:85], v[112:113], v[84:85]
	v_add_f64 v[44:45], v[74:75], v[44:45]
	;; [unrolled: 1-line block ×4, first 2 shown]
	v_mul_f64 v[74:75], v[34:35], s[34:35]
	v_mul_f64 v[112:113], v[38:39], s[34:35]
	v_fma_f64 v[114:115], v[40:41], s[0:1], v[122:123]
	v_mul_f64 v[78:79], v[66:67], s[26:27]
	v_fma_f64 v[132:133], v[70:71], s[0:1], v[132:133]
	v_add_f64 v[96:97], v[2:3], v[96:97]
	v_add_f64 v[108:109], v[0:1], v[108:109]
	;; [unrolled: 1-line block ×4, first 2 shown]
	v_add_f64 v[48:49], v[8:9], -v[24:25]
	v_add_f64 v[60:61], v[10:11], -v[26:27]
	v_add_f64 v[32:33], v[52:53], v[32:33]
	v_add_f64 v[36:37], v[72:73], v[36:37]
	v_mul_f64 v[128:129], v[62:63], s[24:25]
	v_add_f64 v[140:141], v[0:1], v[140:141]
	v_fma_f64 v[148:149], v[94:95], s[8:9], -v[130:131]
	v_fma_f64 v[130:131], v[94:95], s[8:9], v[130:131]
	v_fma_f64 v[122:123], v[40:41], s[0:1], -v[122:123]
	v_add_f64 v[84:85], v[138:139], v[84:85]
	v_add_f64 v[44:45], v[102:103], v[44:45]
	;; [unrolled: 1-line block ×4, first 2 shown]
	v_fma_f64 v[102:103], v[58:59], s[20:21], v[74:75]
	v_fma_f64 v[142:143], v[70:71], s[20:21], -v[112:113]
	v_add_f64 v[110:111], v[2:3], v[114:115]
	v_fma_f64 v[114:115], v[88:89], s[8:9], v[120:121]
	v_fma_f64 v[120:121], v[88:89], s[8:9], -v[120:121]
	v_add_f64 v[96:97], v[124:125], v[96:97]
	v_add_f64 v[108:109], v[132:133], v[108:109]
	v_fma_f64 v[132:133], v[94:95], s[22:23], -v[78:79]
	v_fma_f64 v[52:53], v[82:83], s[20:21], -v[118:119]
	v_mul_f64 v[116:117], v[48:49], s[26:27]
	v_fma_f64 v[74:75], v[58:59], s[20:21], -v[74:75]
	v_add_f64 v[14:15], v[32:33], v[14:15]
	v_add_f64 v[12:13], v[36:37], v[12:13]
	v_fma_f64 v[112:113], v[70:71], s[20:21], v[112:113]
	v_add_f64 v[140:141], v[150:151], v[140:141]
	v_mul_f64 v[32:33], v[64:65], s[30:31]
	v_add_f64 v[80:81], v[10:11], v[26:27]
	v_add_f64 v[90:91], v[8:9], v[24:25]
	;; [unrolled: 1-line block ×6, first 2 shown]
	v_mul_f64 v[86:87], v[50:51], s[30:31]
	v_fma_f64 v[100:101], v[42:43], s[0:1], v[134:135]
	v_fma_f64 v[106:107], v[88:89], s[22:23], v[136:137]
	v_add_f64 v[102:103], v[102:103], v[110:111]
	v_fma_f64 v[110:111], v[82:83], s[20:21], v[118:119]
	v_add_f64 v[114:115], v[114:115], v[126:127]
	v_mul_f64 v[126:127], v[62:63], s[30:31]
	v_add_f64 v[134:135], v[142:143], v[144:145]
	v_mul_f64 v[142:143], v[60:61], s[26:27]
	s_mov_b32 s27, 0xbfed1bb4
	v_fma_f64 v[144:145], v[92:93], s[20:21], -v[128:129]
	v_add_f64 v[72:73], v[120:121], v[96:97]
	v_fma_f64 v[96:97], v[92:93], s[20:21], v[128:129]
	v_add_f64 v[118:119], v[2:3], v[122:123]
	v_add_f64 v[108:109], v[130:131], v[108:109]
	v_mul_f64 v[36:37], v[64:65], s[26:27]
	v_add_f64 v[10:11], v[14:15], v[10:11]
	v_add_f64 v[8:9], v[12:13], v[8:9]
	;; [unrolled: 1-line block ×3, first 2 shown]
	v_fma_f64 v[78:79], v[94:95], s[22:23], v[78:79]
	v_fma_f64 v[12:13], v[42:43], s[8:9], v[32:33]
	;; [unrolled: 1-line block ×4, first 2 shown]
	v_add_f64 v[100:101], v[0:1], v[100:101]
	v_fma_f64 v[64:65], v[80:81], s[22:23], -v[116:117]
	v_add_f64 v[102:103], v[106:107], v[102:103]
	v_fma_f64 v[116:117], v[88:89], s[22:23], -v[136:137]
	v_add_f64 v[106:107], v[110:111], v[114:115]
	v_mul_f64 v[110:111], v[54:55], s[26:27]
	v_fma_f64 v[128:129], v[92:93], s[8:9], -v[126:127]
	v_add_f64 v[130:131], v[132:133], v[134:135]
	v_mul_f64 v[54:55], v[54:55], s[30:31]
	v_fma_f64 v[32:33], v[42:43], s[8:9], -v[32:33]
	v_fma_f64 v[132:133], v[90:91], s[22:23], -v[142:143]
	v_add_f64 v[52:53], v[52:53], v[72:73]
	v_add_f64 v[74:75], v[74:75], v[118:119]
	v_fma_f64 v[72:73], v[90:91], s[22:23], v[142:143]
	v_fma_f64 v[14:15], v[42:43], s[22:23], v[36:37]
	v_fma_f64 v[36:37], v[42:43], s[22:23], -v[36:37]
	v_add_f64 v[10:11], v[10:11], v[26:27]
	v_add_f64 v[8:9], v[8:9], v[24:25]
	;; [unrolled: 1-line block ×3, first 2 shown]
	v_mul_f64 v[42:43], v[56:57], s[34:35]
	v_mul_f64 v[56:57], v[56:57], s[18:19]
	v_add_f64 v[12:13], v[0:1], v[12:13]
	v_add_f64 v[100:101], v[112:113], v[100:101]
	v_mul_f64 v[112:113], v[34:35], s[16:17]
	v_add_f64 v[102:103], v[122:123], v[102:103]
	v_mul_f64 v[122:123], v[38:39], s[16:17]
	v_mul_f64 v[34:35], v[34:35], s[26:27]
	v_fma_f64 v[118:119], v[40:41], s[22:23], -v[110:111]
	v_mul_f64 v[38:39], v[38:39], s[26:27]
	v_add_f64 v[128:129], v[128:129], v[130:131]
	v_fma_f64 v[130:131], v[40:41], s[8:9], -v[54:55]
	v_fma_f64 v[110:111], v[40:41], s[22:23], v[110:111]
	v_fma_f64 v[40:41], v[40:41], s[8:9], v[54:55]
	v_mul_f64 v[120:121], v[48:49], s[16:17]
	v_add_f64 v[74:75], v[116:117], v[74:75]
	v_fma_f64 v[116:117], v[92:93], s[8:9], v[126:127]
	v_add_f64 v[14:15], v[0:1], v[14:15]
	v_add_f64 v[36:37], v[0:1], v[36:37]
	;; [unrolled: 1-line block ×5, first 2 shown]
	v_mul_f64 v[32:33], v[50:51], s[28:29]
	v_mul_f64 v[50:51], v[50:51], s[16:17]
	v_fma_f64 v[28:29], v[88:89], s[20:21], v[42:43]
	v_add_f64 v[54:55], v[78:79], v[100:101]
	v_mul_f64 v[78:79], v[66:67], s[34:35]
	v_fma_f64 v[100:101], v[58:59], s[2:3], -v[112:113]
	v_mul_f64 v[66:67], v[66:67], s[18:19]
	v_fma_f64 v[140:141], v[58:59], s[22:23], -v[34:35]
	v_add_f64 v[118:119], v[2:3], v[118:119]
	v_fma_f64 v[142:143], v[70:71], s[22:23], v[38:39]
	v_fma_f64 v[126:127], v[70:71], s[2:3], v[122:123]
	v_add_f64 v[130:131], v[2:3], v[130:131]
	v_fma_f64 v[24:25], v[58:59], s[2:3], v[112:113]
	v_add_f64 v[26:27], v[2:3], v[110:111]
	v_fma_f64 v[110:111], v[70:71], s[2:3], -v[122:123]
	v_fma_f64 v[34:35], v[58:59], s[22:23], v[34:35]
	v_add_f64 v[2:3], v[2:3], v[40:41]
	v_fma_f64 v[38:39], v[70:71], s[22:23], -v[38:39]
	v_mul_f64 v[40:41], v[62:63], s[28:29]
	v_fma_f64 v[58:59], v[88:89], s[20:21], -v[42:43]
	v_mul_f64 v[62:63], v[62:63], s[16:17]
	v_fma_f64 v[112:113], v[88:89], s[0:1], -v[56:57]
	v_fma_f64 v[86:87], v[82:83], s[8:9], -v[86:87]
	v_add_f64 v[6:7], v[10:11], v[6:7]
	v_add_f64 v[4:5], v[8:9], v[4:5]
	v_mul_f64 v[98:99], v[48:49], s[18:19]
	v_mul_f64 v[104:105], v[60:61], s[18:19]
	;; [unrolled: 1-line block ×3, first 2 shown]
	v_fma_f64 v[122:123], v[94:95], s[0:1], v[66:67]
	v_mul_f64 v[42:43], v[60:61], s[10:11]
	v_add_f64 v[70:71], v[100:101], v[118:119]
	v_add_f64 v[12:13], v[142:143], v[12:13]
	v_fma_f64 v[100:101], v[94:95], s[20:21], v[78:79]
	v_add_f64 v[118:119], v[140:141], v[130:131]
	v_add_f64 v[14:15], v[126:127], v[14:15]
	;; [unrolled: 1-line block ×3, first 2 shown]
	v_fma_f64 v[26:27], v[94:95], s[20:21], -v[78:79]
	v_add_f64 v[30:31], v[110:111], v[36:37]
	v_fma_f64 v[36:37], v[88:89], s[0:1], v[56:57]
	v_add_f64 v[2:3], v[34:35], v[2:3]
	v_fma_f64 v[34:35], v[94:95], s[0:1], -v[66:67]
	v_add_f64 v[0:1], v[38:39], v[0:1]
	v_mul_f64 v[38:39], v[48:49], s[10:11]
	v_fma_f64 v[56:57], v[82:83], s[0:1], -v[32:33]
	v_mul_f64 v[48:49], v[48:49], s[24:25]
	v_mul_f64 v[60:61], v[60:61], s[24:25]
	v_fma_f64 v[88:89], v[92:93], s[2:3], v[62:63]
	v_fma_f64 v[66:67], v[92:93], s[0:1], v[40:41]
	v_add_f64 v[16:17], v[4:5], v[16:17]
	v_add_f64 v[96:97], v[96:97], v[108:109]
	v_fma_f64 v[76:77], v[80:81], s[0:1], v[98:99]
	v_fma_f64 v[138:139], v[90:91], s[0:1], -v[104:105]
	v_add_f64 v[58:59], v[58:59], v[70:71]
	v_fma_f64 v[70:71], v[82:83], s[2:3], -v[50:51]
	v_add_f64 v[8:9], v[122:123], v[12:13]
	v_add_f64 v[78:79], v[112:113], v[118:119]
	;; [unrolled: 1-line block ×3, first 2 shown]
	v_fma_f64 v[12:13], v[82:83], s[0:1], v[32:33]
	v_add_f64 v[14:15], v[28:29], v[24:25]
	v_fma_f64 v[24:25], v[92:93], s[0:1], -v[40:41]
	v_add_f64 v[26:27], v[26:27], v[30:31]
	v_fma_f64 v[28:29], v[82:83], s[2:3], v[50:51]
	v_add_f64 v[2:3], v[36:37], v[2:3]
	v_fma_f64 v[30:31], v[92:93], s[2:3], -v[62:63]
	v_add_f64 v[0:1], v[34:35], v[0:1]
	v_fma_f64 v[32:33], v[80:81], s[2:3], -v[120:121]
	v_add_f64 v[34:35], v[86:87], v[74:75]
	v_add_f64 v[74:75], v[6:7], v[18:19]
	;; [unrolled: 1-line block ×3, first 2 shown]
	v_fma_f64 v[50:51], v[80:81], s[8:9], -v[38:39]
	v_fma_f64 v[36:37], v[90:91], s[2:3], v[114:115]
	v_fma_f64 v[98:99], v[80:81], s[0:1], -v[98:99]
	v_fma_f64 v[104:105], v[90:91], s[0:1], v[104:105]
	v_fma_f64 v[108:109], v[80:81], s[2:3], v[120:121]
	v_add_f64 v[54:55], v[56:57], v[58:59]
	v_fma_f64 v[58:59], v[80:81], s[20:21], -v[48:49]
	v_fma_f64 v[56:57], v[90:91], s[8:9], v[42:43]
	v_add_f64 v[62:63], v[70:71], v[78:79]
	v_fma_f64 v[70:71], v[90:91], s[20:21], v[60:61]
	v_add_f64 v[78:79], v[88:89], v[8:9]
	v_add_f64 v[66:67], v[66:67], v[10:11]
	v_fma_f64 v[136:137], v[90:91], s[2:3], -v[114:115]
	v_fma_f64 v[38:39], v[80:81], s[8:9], v[38:39]
	v_add_f64 v[82:83], v[12:13], v[14:15]
	v_fma_f64 v[42:43], v[90:91], s[8:9], -v[42:43]
	v_add_f64 v[86:87], v[24:25], v[26:27]
	v_fma_f64 v[48:49], v[80:81], s[20:21], v[48:49]
	v_add_f64 v[80:81], v[28:29], v[2:3]
	v_fma_f64 v[60:61], v[90:91], s[20:21], -v[60:61]
	v_add_f64 v[88:89], v[30:31], v[0:1]
	v_add_f64 v[18:19], v[32:33], v[34:35]
	v_add_f64 v[32:33], v[74:75], v[22:23]
	v_add_f64 v[30:31], v[16:17], v[20:21]
	v_add_f64 v[16:17], v[36:37], v[40:41]
	v_add_f64 v[14:15], v[64:65], v[52:53]
	v_add_f64 v[12:13], v[72:73], v[96:97]
	v_add_f64 v[24:25], v[50:51], v[54:55]
	v_add_f64 v[6:7], v[98:99], v[44:45]
	v_add_f64 v[4:5], v[104:105], v[46:47]
	v_add_f64 v[28:29], v[58:59], v[62:63]
	v_add_f64 v[2:3], v[76:77], v[68:69]
	v_add_f64 v[26:27], v[70:71], v[78:79]
	v_add_f64 v[22:23], v[56:57], v[66:67]
	v_add_f64 v[0:1], v[138:139], v[84:85]
	v_add_f64 v[10:11], v[124:125], v[106:107]
	v_add_f64 v[8:9], v[132:133], v[134:135]
	v_add_f64 v[36:37], v[108:109], v[102:103]
	v_add_f64 v[34:35], v[136:137], v[128:129]
	v_add_f64 v[40:41], v[38:39], v[82:83]
	v_add_f64 v[38:39], v[42:43], v[86:87]
	v_add_f64 v[44:45], v[48:49], v[80:81]
	v_add_f64 v[42:43], v[60:61], v[88:89]
	ds_write_b128 v255, v[30:33]
	ds_write_b128 v255, v[26:29] offset:2720
	ds_write_b128 v255, v[22:25] offset:5440
	;; [unrolled: 1-line block ×10, first 2 shown]
.LBB0_21:
	s_or_b32 exec_lo, exec_lo, s33
	s_waitcnt lgkmcnt(0)
	s_barrier
	buffer_gl0_inv
	s_and_b32 exec_lo, exec_lo, vcc_lo
	s_cbranch_execz .LBB0_23
; %bb.22:
	global_load_dwordx4 v[0:3], v255, s[12:13]
	ds_read_b128 v[4:7], v255
	ds_read_b128 v[8:11], v255 offset:1760
	ds_read_b128 v[12:15], v255 offset:28160
	s_clause 0x1
	buffer_load_dword v18, off, s[60:63], 0
	buffer_load_dword v19, off, s[60:63], 0 offset:4
	s_mov_b32 s0, 0xfa401186
	s_mov_b32 s1, 0x3f4185e2
	v_add_co_u32 v22, s2, s12, v255
	v_add_co_ci_u32_e64 v23, null, s13, 0, s2
	s_mul_i32 s2, s5, 0x6e0
	s_mul_i32 s3, s4, 0x6e0
	s_waitcnt vmcnt(2) lgkmcnt(2)
	v_mul_f64 v[16:17], v[6:7], v[2:3]
	v_mul_f64 v[2:3], v[4:5], v[2:3]
	s_waitcnt vmcnt(1)
	v_mov_b32_e32 v20, v18
	s_waitcnt vmcnt(0)
	v_mad_u64_u32 v[18:19], null, s6, v20, 0
	v_fma_f64 v[4:5], v[4:5], v[0:1], v[16:17]
	v_fma_f64 v[2:3], v[0:1], v[6:7], -v[2:3]
	v_mad_u64_u32 v[6:7], null, s4, v254, 0
	v_mov_b32_e32 v0, v19
	v_mov_b32_e32 v1, v7
	v_mad_u64_u32 v[16:17], null, s7, v20, v[0:1]
	v_mov_b32_e32 v19, v16
	v_mad_u64_u32 v[20:21], null, s5, v254, v[1:2]
	v_mul_f64 v[0:1], v[4:5], s[0:1]
	v_mul_f64 v[2:3], v[2:3], s[0:1]
	v_lshlrev_b64 v[4:5], 4, v[18:19]
	s_mul_hi_u32 s5, s4, 0x6e0
	s_add_i32 s2, s5, s2
	v_mov_b32_e32 v7, v20
	v_add_co_u32 v4, vcc_lo, s14, v4
	v_add_co_ci_u32_e32 v5, vcc_lo, s15, v5, vcc_lo
	v_lshlrev_b64 v[6:7], 4, v[6:7]
	v_add_co_u32 v4, vcc_lo, v4, v6
	v_add_co_ci_u32_e32 v5, vcc_lo, v5, v7, vcc_lo
	v_add_co_u32 v16, vcc_lo, v4, s3
	global_store_dwordx4 v[4:5], v[0:3], off
	global_load_dwordx4 v[0:3], v255, s[12:13] offset:1760
	v_add_co_ci_u32_e32 v17, vcc_lo, s2, v5, vcc_lo
	v_add_co_u32 v4, vcc_lo, 0x800, v22
	v_add_co_ci_u32_e32 v5, vcc_lo, 0, v23, vcc_lo
	s_waitcnt vmcnt(0) lgkmcnt(1)
	v_mul_f64 v[6:7], v[10:11], v[2:3]
	v_mul_f64 v[2:3], v[8:9], v[2:3]
	v_fma_f64 v[6:7], v[8:9], v[0:1], v[6:7]
	v_fma_f64 v[2:3], v[0:1], v[10:11], -v[2:3]
	v_mul_f64 v[0:1], v[6:7], s[0:1]
	v_mul_f64 v[2:3], v[2:3], s[0:1]
	global_store_dwordx4 v[16:17], v[0:3], off
	global_load_dwordx4 v[0:3], v[4:5], off offset:1472
	ds_read_b128 v[4:7], v255 offset:3520
	ds_read_b128 v[8:11], v255 offset:5280
	s_waitcnt vmcnt(0) lgkmcnt(1)
	v_mul_f64 v[18:19], v[6:7], v[2:3]
	v_mul_f64 v[2:3], v[4:5], v[2:3]
	v_fma_f64 v[4:5], v[4:5], v[0:1], v[18:19]
	v_fma_f64 v[2:3], v[0:1], v[6:7], -v[2:3]
	v_mul_f64 v[0:1], v[4:5], s[0:1]
	v_mul_f64 v[2:3], v[2:3], s[0:1]
	v_add_co_u32 v4, vcc_lo, v16, s3
	v_add_co_ci_u32_e32 v5, vcc_lo, s2, v17, vcc_lo
	v_add_co_u32 v6, vcc_lo, 0x1000, v22
	v_add_co_ci_u32_e32 v7, vcc_lo, 0, v23, vcc_lo
	;; [unrolled: 2-line block ×3, first 2 shown]
	global_store_dwordx4 v[4:5], v[0:3], off
	global_load_dwordx4 v[0:3], v[6:7], off offset:1184
	v_add_co_u32 v4, vcc_lo, 0x1800, v22
	v_add_co_ci_u32_e32 v5, vcc_lo, 0, v23, vcc_lo
	s_waitcnt vmcnt(0) lgkmcnt(0)
	v_mul_f64 v[6:7], v[10:11], v[2:3]
	v_mul_f64 v[2:3], v[8:9], v[2:3]
	v_fma_f64 v[6:7], v[8:9], v[0:1], v[6:7]
	v_fma_f64 v[2:3], v[0:1], v[10:11], -v[2:3]
	v_mul_f64 v[0:1], v[6:7], s[0:1]
	v_mul_f64 v[2:3], v[2:3], s[0:1]
	global_store_dwordx4 v[16:17], v[0:3], off
	global_load_dwordx4 v[0:3], v[4:5], off offset:896
	ds_read_b128 v[4:7], v255 offset:7040
	ds_read_b128 v[8:11], v255 offset:8800
	s_waitcnt vmcnt(0) lgkmcnt(1)
	v_mul_f64 v[18:19], v[6:7], v[2:3]
	v_mul_f64 v[2:3], v[4:5], v[2:3]
	v_fma_f64 v[4:5], v[4:5], v[0:1], v[18:19]
	v_fma_f64 v[2:3], v[0:1], v[6:7], -v[2:3]
	v_mul_f64 v[0:1], v[4:5], s[0:1]
	v_mul_f64 v[2:3], v[2:3], s[0:1]
	v_add_co_u32 v4, vcc_lo, v16, s3
	v_add_co_ci_u32_e32 v5, vcc_lo, s2, v17, vcc_lo
	v_add_co_u32 v6, vcc_lo, 0x2000, v22
	v_add_co_ci_u32_e32 v7, vcc_lo, 0, v23, vcc_lo
	;; [unrolled: 2-line block ×3, first 2 shown]
	global_store_dwordx4 v[4:5], v[0:3], off
	global_load_dwordx4 v[0:3], v[6:7], off offset:608
	v_add_co_u32 v4, vcc_lo, 0x2800, v22
	v_add_co_ci_u32_e32 v5, vcc_lo, 0, v23, vcc_lo
	s_waitcnt vmcnt(0) lgkmcnt(0)
	v_mul_f64 v[6:7], v[10:11], v[2:3]
	v_mul_f64 v[2:3], v[8:9], v[2:3]
	v_fma_f64 v[6:7], v[8:9], v[0:1], v[6:7]
	v_fma_f64 v[2:3], v[0:1], v[10:11], -v[2:3]
	v_mul_f64 v[0:1], v[6:7], s[0:1]
	v_mul_f64 v[2:3], v[2:3], s[0:1]
	global_store_dwordx4 v[16:17], v[0:3], off
	global_load_dwordx4 v[0:3], v[4:5], off offset:320
	ds_read_b128 v[4:7], v255 offset:10560
	ds_read_b128 v[8:11], v255 offset:12320
	s_waitcnt vmcnt(0) lgkmcnt(1)
	v_mul_f64 v[18:19], v[6:7], v[2:3]
	v_mul_f64 v[2:3], v[4:5], v[2:3]
	v_fma_f64 v[4:5], v[4:5], v[0:1], v[18:19]
	v_fma_f64 v[2:3], v[0:1], v[6:7], -v[2:3]
	v_mul_f64 v[0:1], v[4:5], s[0:1]
	v_mul_f64 v[2:3], v[2:3], s[0:1]
	v_add_co_u32 v4, vcc_lo, v16, s3
	v_add_co_ci_u32_e32 v5, vcc_lo, s2, v17, vcc_lo
	v_add_co_u32 v6, vcc_lo, 0x3000, v22
	v_add_co_ci_u32_e32 v7, vcc_lo, 0, v23, vcc_lo
	global_store_dwordx4 v[4:5], v[0:3], off
	global_load_dwordx4 v[0:3], v[6:7], off offset:32
	s_waitcnt vmcnt(0) lgkmcnt(0)
	v_mul_f64 v[16:17], v[10:11], v[2:3]
	v_mul_f64 v[2:3], v[8:9], v[2:3]
	v_fma_f64 v[8:9], v[8:9], v[0:1], v[16:17]
	v_fma_f64 v[2:3], v[0:1], v[10:11], -v[2:3]
	v_add_co_u32 v16, vcc_lo, v4, s3
	v_add_co_ci_u32_e32 v17, vcc_lo, s2, v5, vcc_lo
	v_mul_f64 v[0:1], v[8:9], s[0:1]
	v_mul_f64 v[2:3], v[2:3], s[0:1]
	global_store_dwordx4 v[16:17], v[0:3], off
	global_load_dwordx4 v[0:3], v[6:7], off offset:1792
	ds_read_b128 v[4:7], v255 offset:14080
	ds_read_b128 v[8:11], v255 offset:15840
	s_waitcnt vmcnt(0) lgkmcnt(1)
	v_mul_f64 v[18:19], v[6:7], v[2:3]
	v_mul_f64 v[2:3], v[4:5], v[2:3]
	v_fma_f64 v[4:5], v[4:5], v[0:1], v[18:19]
	v_fma_f64 v[2:3], v[0:1], v[6:7], -v[2:3]
	v_mul_f64 v[0:1], v[4:5], s[0:1]
	v_mul_f64 v[2:3], v[2:3], s[0:1]
	v_add_co_u32 v4, vcc_lo, v16, s3
	v_add_co_ci_u32_e32 v5, vcc_lo, s2, v17, vcc_lo
	v_add_co_u32 v6, vcc_lo, 0x3800, v22
	v_add_co_ci_u32_e32 v7, vcc_lo, 0, v23, vcc_lo
	;; [unrolled: 2-line block ×3, first 2 shown]
	global_store_dwordx4 v[4:5], v[0:3], off
	global_load_dwordx4 v[0:3], v[6:7], off offset:1504
	v_add_co_u32 v4, vcc_lo, 0x4000, v22
	v_add_co_ci_u32_e32 v5, vcc_lo, 0, v23, vcc_lo
	s_waitcnt vmcnt(0) lgkmcnt(0)
	v_mul_f64 v[6:7], v[10:11], v[2:3]
	v_mul_f64 v[2:3], v[8:9], v[2:3]
	v_fma_f64 v[6:7], v[8:9], v[0:1], v[6:7]
	v_fma_f64 v[2:3], v[0:1], v[10:11], -v[2:3]
	v_mul_f64 v[0:1], v[6:7], s[0:1]
	v_mul_f64 v[2:3], v[2:3], s[0:1]
	global_store_dwordx4 v[16:17], v[0:3], off
	global_load_dwordx4 v[0:3], v[4:5], off offset:1216
	ds_read_b128 v[4:7], v255 offset:17600
	ds_read_b128 v[8:11], v255 offset:19360
	s_waitcnt vmcnt(0) lgkmcnt(1)
	v_mul_f64 v[18:19], v[6:7], v[2:3]
	v_mul_f64 v[2:3], v[4:5], v[2:3]
	v_fma_f64 v[4:5], v[4:5], v[0:1], v[18:19]
	v_fma_f64 v[2:3], v[0:1], v[6:7], -v[2:3]
	v_mul_f64 v[0:1], v[4:5], s[0:1]
	v_mul_f64 v[2:3], v[2:3], s[0:1]
	v_add_co_u32 v4, vcc_lo, v16, s3
	v_add_co_ci_u32_e32 v5, vcc_lo, s2, v17, vcc_lo
	v_add_co_u32 v6, vcc_lo, 0x4800, v22
	v_add_co_ci_u32_e32 v7, vcc_lo, 0, v23, vcc_lo
	;; [unrolled: 2-line block ×3, first 2 shown]
	global_store_dwordx4 v[4:5], v[0:3], off
	global_load_dwordx4 v[0:3], v[6:7], off offset:928
	v_add_co_u32 v4, vcc_lo, 0x5000, v22
	v_add_co_ci_u32_e32 v5, vcc_lo, 0, v23, vcc_lo
	s_waitcnt vmcnt(0) lgkmcnt(0)
	v_mul_f64 v[6:7], v[10:11], v[2:3]
	v_mul_f64 v[2:3], v[8:9], v[2:3]
	v_fma_f64 v[6:7], v[8:9], v[0:1], v[6:7]
	v_fma_f64 v[2:3], v[0:1], v[10:11], -v[2:3]
	v_mul_f64 v[0:1], v[6:7], s[0:1]
	v_mul_f64 v[2:3], v[2:3], s[0:1]
	global_store_dwordx4 v[16:17], v[0:3], off
	global_load_dwordx4 v[0:3], v[4:5], off offset:640
	ds_read_b128 v[4:7], v255 offset:21120
	ds_read_b128 v[8:11], v255 offset:22880
	s_waitcnt vmcnt(0) lgkmcnt(1)
	v_mul_f64 v[18:19], v[6:7], v[2:3]
	v_mul_f64 v[2:3], v[4:5], v[2:3]
	v_fma_f64 v[4:5], v[4:5], v[0:1], v[18:19]
	v_fma_f64 v[2:3], v[0:1], v[6:7], -v[2:3]
	v_mul_f64 v[0:1], v[4:5], s[0:1]
	v_mul_f64 v[2:3], v[2:3], s[0:1]
	v_add_co_u32 v4, vcc_lo, v16, s3
	v_add_co_ci_u32_e32 v5, vcc_lo, s2, v17, vcc_lo
	v_add_co_u32 v6, vcc_lo, 0x5800, v22
	v_add_co_ci_u32_e32 v7, vcc_lo, 0, v23, vcc_lo
	;; [unrolled: 2-line block ×4, first 2 shown]
	global_store_dwordx4 v[4:5], v[0:3], off
	global_load_dwordx4 v[0:3], v[6:7], off offset:352
	s_waitcnt vmcnt(0) lgkmcnt(0)
	v_mul_f64 v[6:7], v[10:11], v[2:3]
	v_mul_f64 v[2:3], v[8:9], v[2:3]
	v_fma_f64 v[6:7], v[8:9], v[0:1], v[6:7]
	v_fma_f64 v[2:3], v[0:1], v[10:11], -v[2:3]
	v_mul_f64 v[0:1], v[6:7], s[0:1]
	v_mul_f64 v[2:3], v[2:3], s[0:1]
	global_store_dwordx4 v[16:17], v[0:3], off
	global_load_dwordx4 v[0:3], v[18:19], off offset:64
	ds_read_b128 v[4:7], v255 offset:24640
	ds_read_b128 v[8:11], v255 offset:26400
	s_waitcnt vmcnt(0) lgkmcnt(1)
	v_mul_f64 v[20:21], v[6:7], v[2:3]
	v_mul_f64 v[2:3], v[4:5], v[2:3]
	v_fma_f64 v[4:5], v[4:5], v[0:1], v[20:21]
	v_fma_f64 v[2:3], v[0:1], v[6:7], -v[2:3]
	v_mul_f64 v[0:1], v[4:5], s[0:1]
	v_mul_f64 v[2:3], v[2:3], s[0:1]
	v_add_co_u32 v4, vcc_lo, v16, s3
	v_add_co_ci_u32_e32 v5, vcc_lo, s2, v17, vcc_lo
	global_store_dwordx4 v[4:5], v[0:3], off
	global_load_dwordx4 v[0:3], v[18:19], off offset:1824
	v_add_co_u32 v4, vcc_lo, v4, s3
	v_add_co_ci_u32_e32 v5, vcc_lo, s2, v5, vcc_lo
	s_waitcnt vmcnt(0) lgkmcnt(0)
	v_mul_f64 v[6:7], v[10:11], v[2:3]
	v_mul_f64 v[2:3], v[8:9], v[2:3]
	v_fma_f64 v[6:7], v[8:9], v[0:1], v[6:7]
	v_fma_f64 v[2:3], v[0:1], v[10:11], -v[2:3]
	v_mul_f64 v[0:1], v[6:7], s[0:1]
	v_mul_f64 v[2:3], v[2:3], s[0:1]
	v_add_co_u32 v6, vcc_lo, 0x6800, v22
	v_add_co_ci_u32_e32 v7, vcc_lo, 0, v23, vcc_lo
	global_store_dwordx4 v[4:5], v[0:3], off
	global_load_dwordx4 v[0:3], v[6:7], off offset:1536
	v_add_co_u32 v4, vcc_lo, v4, s3
	v_add_co_ci_u32_e32 v5, vcc_lo, s2, v5, vcc_lo
	s_waitcnt vmcnt(0)
	v_mul_f64 v[6:7], v[14:15], v[2:3]
	v_mul_f64 v[2:3], v[12:13], v[2:3]
	v_fma_f64 v[6:7], v[12:13], v[0:1], v[6:7]
	v_fma_f64 v[2:3], v[0:1], v[14:15], -v[2:3]
	v_mul_f64 v[0:1], v[6:7], s[0:1]
	v_mul_f64 v[2:3], v[2:3], s[0:1]
	global_store_dwordx4 v[4:5], v[0:3], off
.LBB0_23:
	s_endpgm
	.section	.rodata,"a",@progbits
	.p2align	6, 0x0
	.amdhsa_kernel bluestein_single_fwd_len1870_dim1_dp_op_CI_CI
		.amdhsa_group_segment_fixed_size 29920
		.amdhsa_private_segment_fixed_size 608
		.amdhsa_kernarg_size 104
		.amdhsa_user_sgpr_count 6
		.amdhsa_user_sgpr_private_segment_buffer 1
		.amdhsa_user_sgpr_dispatch_ptr 0
		.amdhsa_user_sgpr_queue_ptr 0
		.amdhsa_user_sgpr_kernarg_segment_ptr 1
		.amdhsa_user_sgpr_dispatch_id 0
		.amdhsa_user_sgpr_flat_scratch_init 0
		.amdhsa_user_sgpr_private_segment_size 0
		.amdhsa_wavefront_size32 1
		.amdhsa_uses_dynamic_stack 0
		.amdhsa_system_sgpr_private_segment_wavefront_offset 1
		.amdhsa_system_sgpr_workgroup_id_x 1
		.amdhsa_system_sgpr_workgroup_id_y 0
		.amdhsa_system_sgpr_workgroup_id_z 0
		.amdhsa_system_sgpr_workgroup_info 0
		.amdhsa_system_vgpr_workitem_id 0
		.amdhsa_next_free_vgpr 256
		.amdhsa_next_free_sgpr 64
		.amdhsa_reserve_vcc 1
		.amdhsa_reserve_flat_scratch 0
		.amdhsa_float_round_mode_32 0
		.amdhsa_float_round_mode_16_64 0
		.amdhsa_float_denorm_mode_32 3
		.amdhsa_float_denorm_mode_16_64 3
		.amdhsa_dx10_clamp 1
		.amdhsa_ieee_mode 1
		.amdhsa_fp16_overflow 0
		.amdhsa_workgroup_processor_mode 1
		.amdhsa_memory_ordered 1
		.amdhsa_forward_progress 0
		.amdhsa_shared_vgpr_count 0
		.amdhsa_exception_fp_ieee_invalid_op 0
		.amdhsa_exception_fp_denorm_src 0
		.amdhsa_exception_fp_ieee_div_zero 0
		.amdhsa_exception_fp_ieee_overflow 0
		.amdhsa_exception_fp_ieee_underflow 0
		.amdhsa_exception_fp_ieee_inexact 0
		.amdhsa_exception_int_div_zero 0
	.end_amdhsa_kernel
	.text
.Lfunc_end0:
	.size	bluestein_single_fwd_len1870_dim1_dp_op_CI_CI, .Lfunc_end0-bluestein_single_fwd_len1870_dim1_dp_op_CI_CI
                                        ; -- End function
	.section	.AMDGPU.csdata,"",@progbits
; Kernel info:
; codeLenInByte = 32716
; NumSgprs: 66
; NumVgprs: 256
; ScratchSize: 608
; MemoryBound: 0
; FloatMode: 240
; IeeeMode: 1
; LDSByteSize: 29920 bytes/workgroup (compile time only)
; SGPRBlocks: 8
; VGPRBlocks: 31
; NumSGPRsForWavesPerEU: 66
; NumVGPRsForWavesPerEU: 256
; Occupancy: 4
; WaveLimiterHint : 1
; COMPUTE_PGM_RSRC2:SCRATCH_EN: 1
; COMPUTE_PGM_RSRC2:USER_SGPR: 6
; COMPUTE_PGM_RSRC2:TRAP_HANDLER: 0
; COMPUTE_PGM_RSRC2:TGID_X_EN: 1
; COMPUTE_PGM_RSRC2:TGID_Y_EN: 0
; COMPUTE_PGM_RSRC2:TGID_Z_EN: 0
; COMPUTE_PGM_RSRC2:TIDIG_COMP_CNT: 0
	.text
	.p2alignl 6, 3214868480
	.fill 48, 4, 3214868480
	.type	__hip_cuid_222a20c2deb9d26e,@object ; @__hip_cuid_222a20c2deb9d26e
	.section	.bss,"aw",@nobits
	.globl	__hip_cuid_222a20c2deb9d26e
__hip_cuid_222a20c2deb9d26e:
	.byte	0                               ; 0x0
	.size	__hip_cuid_222a20c2deb9d26e, 1

	.ident	"AMD clang version 19.0.0git (https://github.com/RadeonOpenCompute/llvm-project roc-6.4.0 25133 c7fe45cf4b819c5991fe208aaa96edf142730f1d)"
	.section	".note.GNU-stack","",@progbits
	.addrsig
	.addrsig_sym __hip_cuid_222a20c2deb9d26e
	.amdgpu_metadata
---
amdhsa.kernels:
  - .args:
      - .actual_access:  read_only
        .address_space:  global
        .offset:         0
        .size:           8
        .value_kind:     global_buffer
      - .actual_access:  read_only
        .address_space:  global
        .offset:         8
        .size:           8
        .value_kind:     global_buffer
      - .actual_access:  read_only
        .address_space:  global
        .offset:         16
        .size:           8
        .value_kind:     global_buffer
      - .actual_access:  read_only
        .address_space:  global
        .offset:         24
        .size:           8
        .value_kind:     global_buffer
      - .actual_access:  read_only
        .address_space:  global
        .offset:         32
        .size:           8
        .value_kind:     global_buffer
      - .offset:         40
        .size:           8
        .value_kind:     by_value
      - .address_space:  global
        .offset:         48
        .size:           8
        .value_kind:     global_buffer
      - .address_space:  global
        .offset:         56
        .size:           8
        .value_kind:     global_buffer
      - .address_space:  global
        .offset:         64
        .size:           8
        .value_kind:     global_buffer
      - .address_space:  global
        .offset:         72
        .size:           8
        .value_kind:     global_buffer
      - .offset:         80
        .size:           4
        .value_kind:     by_value
      - .address_space:  global
        .offset:         88
        .size:           8
        .value_kind:     global_buffer
      - .address_space:  global
        .offset:         96
        .size:           8
        .value_kind:     global_buffer
    .group_segment_fixed_size: 29920
    .kernarg_segment_align: 8
    .kernarg_segment_size: 104
    .language:       OpenCL C
    .language_version:
      - 2
      - 0
    .max_flat_workgroup_size: 187
    .name:           bluestein_single_fwd_len1870_dim1_dp_op_CI_CI
    .private_segment_fixed_size: 608
    .sgpr_count:     66
    .sgpr_spill_count: 0
    .symbol:         bluestein_single_fwd_len1870_dim1_dp_op_CI_CI.kd
    .uniform_work_group_size: 1
    .uses_dynamic_stack: false
    .vgpr_count:     256
    .vgpr_spill_count: 173
    .wavefront_size: 32
    .workgroup_processor_mode: 1
amdhsa.target:   amdgcn-amd-amdhsa--gfx1030
amdhsa.version:
  - 1
  - 2
...

	.end_amdgpu_metadata
